;; amdgpu-corpus repo=ROCm/rocFFT kind=compiled arch=gfx906 opt=O3
	.text
	.amdgcn_target "amdgcn-amd-amdhsa--gfx906"
	.amdhsa_code_object_version 6
	.protected	bluestein_single_back_len594_dim1_dp_op_CI_CI ; -- Begin function bluestein_single_back_len594_dim1_dp_op_CI_CI
	.globl	bluestein_single_back_len594_dim1_dp_op_CI_CI
	.p2align	8
	.type	bluestein_single_back_len594_dim1_dp_op_CI_CI,@function
bluestein_single_back_len594_dim1_dp_op_CI_CI: ; @bluestein_single_back_len594_dim1_dp_op_CI_CI
; %bb.0:
	s_load_dwordx4 s[0:3], s[4:5], 0x28
	v_mul_u32_u24_e32 v1, 0x296, v0
	v_add_u32_sdwa v100, s6, v1 dst_sel:DWORD dst_unused:UNUSED_PAD src0_sel:DWORD src1_sel:WORD_1
	v_mov_b32_e32 v101, 0
	s_waitcnt lgkmcnt(0)
	v_cmp_gt_u64_e32 vcc, s[0:1], v[100:101]
	s_and_saveexec_b64 s[0:1], vcc
	s_cbranch_execz .LBB0_15
; %bb.1:
	s_load_dwordx2 s[14:15], s[4:5], 0x0
	s_load_dwordx2 s[12:13], s[4:5], 0x38
	s_movk_i32 s0, 0x63
	v_mul_lo_u16_sdwa v1, v1, s0 dst_sel:DWORD dst_unused:UNUSED_PAD src0_sel:WORD_1 src1_sel:DWORD
	v_sub_u16_e32 v186, v0, v1
	v_cmp_gt_u16_e64 s[0:1], 54, v186
	v_lshlrev_b32_e32 v185, 4, v186
	s_and_saveexec_b64 s[6:7], s[0:1]
	s_cbranch_execz .LBB0_3
; %bb.2:
	s_load_dwordx2 s[8:9], s[4:5], 0x18
	s_waitcnt lgkmcnt(0)
	v_mov_b32_e32 v24, s15
	s_load_dwordx4 s[8:11], s[8:9], 0x0
	s_waitcnt lgkmcnt(0)
	v_mad_u64_u32 v[0:1], s[16:17], s10, v100, 0
	v_mad_u64_u32 v[2:3], s[16:17], s8, v186, 0
	;; [unrolled: 1-line block ×4, first 2 shown]
	v_mov_b32_e32 v1, v4
	v_lshlrev_b64 v[0:1], 4, v[0:1]
	v_mov_b32_e32 v3, v5
	v_mov_b32_e32 v6, s3
	v_lshlrev_b64 v[2:3], 4, v[2:3]
	v_add_co_u32_e32 v0, vcc, s2, v0
	v_addc_co_u32_e32 v1, vcc, v6, v1, vcc
	v_add_co_u32_e32 v8, vcc, v0, v2
	s_mul_i32 s2, s9, 0x360
	s_mul_hi_u32 s3, s8, 0x360
	v_addc_co_u32_e32 v9, vcc, v1, v3, vcc
	s_add_i32 s3, s3, s2
	s_mul_i32 s2, s8, 0x360
	v_mov_b32_e32 v0, s3
	v_add_co_u32_e32 v10, vcc, s2, v8
	v_addc_co_u32_e32 v11, vcc, v9, v0, vcc
	global_load_dwordx4 v[0:3], v[8:9], off
	global_load_dwordx4 v[4:7], v[10:11], off
	v_mov_b32_e32 v8, s3
	v_add_co_u32_e32 v56, vcc, s2, v10
	v_addc_co_u32_e32 v57, vcc, v11, v8, vcc
	v_add_co_u32_e32 v25, vcc, s14, v185
	s_movk_i32 s8, 0x1000
	v_addc_co_u32_e32 v24, vcc, 0, v24, vcc
	v_add_co_u32_e32 v80, vcc, s8, v25
	s_movk_i32 s9, 0x2000
	v_addc_co_u32_e32 v81, vcc, 0, v24, vcc
	v_add_co_u32_e32 v48, vcc, s9, v25
	global_load_dwordx4 v[8:11], v185, s[14:15] offset:864
	global_load_dwordx4 v[12:15], v185, s[14:15] offset:1728
	;; [unrolled: 1-line block ×4, first 2 shown]
	v_addc_co_u32_e32 v49, vcc, 0, v24, vcc
	global_load_dwordx4 v[24:27], v[80:81], off offset:224
	global_load_dwordx4 v[28:31], v[80:81], off offset:1088
	;; [unrolled: 1-line block ×4, first 2 shown]
	global_load_dwordx4 v[40:43], v185, s[14:15]
	global_load_dwordx4 v[44:47], v[48:49], off offset:448
	v_mov_b32_e32 v48, s3
	v_add_co_u32_e32 v58, vcc, s2, v56
	v_addc_co_u32_e32 v59, vcc, v57, v48, vcc
	global_load_dwordx4 v[48:51], v[56:57], off
	global_load_dwordx4 v[52:55], v[58:59], off
	v_mov_b32_e32 v61, s3
	v_add_co_u32_e32 v60, vcc, s2, v58
	v_addc_co_u32_e32 v61, vcc, v59, v61, vcc
	v_mov_b32_e32 v62, s3
	v_add_co_u32_e32 v64, vcc, s2, v60
	v_addc_co_u32_e32 v65, vcc, v61, v62, vcc
	;; [unrolled: 3-line block ×3, first 2 shown]
	global_load_dwordx4 v[56:59], v[60:61], off
	v_mov_b32_e32 v70, s3
	global_load_dwordx4 v[60:63], v[64:65], off
	v_add_co_u32_e32 v72, vcc, s2, v68
	global_load_dwordx4 v[64:67], v[68:69], off
	v_addc_co_u32_e32 v73, vcc, v69, v70, vcc
	v_mov_b32_e32 v74, s3
	v_add_co_u32_e32 v76, vcc, s2, v72
	v_addc_co_u32_e32 v77, vcc, v73, v74, vcc
	v_mov_b32_e32 v78, s3
	v_add_co_u32_e32 v84, vcc, s2, v76
	global_load_dwordx4 v[68:71], v[72:73], off
	v_addc_co_u32_e32 v85, vcc, v77, v78, vcc
	global_load_dwordx4 v[72:75], v[76:77], off
	v_mov_b32_e32 v86, s3
	global_load_dwordx4 v[76:79], v[84:85], off
	v_add_co_u32_e32 v84, vcc, s2, v84
	global_load_dwordx4 v[80:83], v[80:81], off offset:3680
	v_addc_co_u32_e32 v85, vcc, v85, v86, vcc
	global_load_dwordx4 v[84:87], v[84:85], off
	s_waitcnt vmcnt(19)
	v_mul_f64 v[90:91], v[6:7], v[10:11]
	v_mul_f64 v[10:11], v[4:5], v[10:11]
	s_waitcnt vmcnt(11)
	v_mul_f64 v[88:89], v[2:3], v[42:43]
	v_mul_f64 v[42:43], v[0:1], v[42:43]
	v_fma_f64 v[4:5], v[4:5], v[8:9], v[90:91]
	v_fma_f64 v[6:7], v[6:7], v[8:9], -v[10:11]
	v_fma_f64 v[0:1], v[0:1], v[40:41], v[88:89]
	s_waitcnt vmcnt(9)
	v_mul_f64 v[88:89], v[50:51], v[14:15]
	v_mul_f64 v[14:15], v[48:49], v[14:15]
	v_fma_f64 v[2:3], v[2:3], v[40:41], -v[42:43]
	s_waitcnt vmcnt(8)
	v_mul_f64 v[40:41], v[54:55], v[18:19]
	ds_write_b128 v185, v[4:7] offset:864
	v_fma_f64 v[8:9], v[48:49], v[12:13], v[88:89]
	v_fma_f64 v[10:11], v[50:51], v[12:13], -v[14:15]
	ds_write_b128 v185, v[0:3]
	v_mul_f64 v[2:3], v[52:53], v[18:19]
	v_fma_f64 v[0:1], v[52:53], v[16:17], v[40:41]
	s_waitcnt vmcnt(7)
	v_mul_f64 v[4:5], v[58:59], v[22:23]
	v_mul_f64 v[6:7], v[56:57], v[22:23]
	s_waitcnt vmcnt(6)
	v_mul_f64 v[12:13], v[62:63], v[26:27]
	v_mul_f64 v[14:15], v[60:61], v[26:27]
	ds_write_b128 v185, v[8:11] offset:1728
	s_waitcnt vmcnt(5)
	v_mul_f64 v[18:19], v[66:67], v[30:31]
	v_mul_f64 v[22:23], v[64:65], v[30:31]
	v_fma_f64 v[2:3], v[54:55], v[16:17], -v[2:3]
	v_fma_f64 v[4:5], v[56:57], v[20:21], v[4:5]
	v_fma_f64 v[6:7], v[58:59], v[20:21], -v[6:7]
	v_fma_f64 v[8:9], v[60:61], v[24:25], v[12:13]
	;; [unrolled: 2-line block ×3, first 2 shown]
	v_fma_f64 v[14:15], v[66:67], v[28:29], -v[22:23]
	s_waitcnt vmcnt(4)
	v_mul_f64 v[16:17], v[70:71], v[34:35]
	v_mul_f64 v[18:19], v[68:69], v[34:35]
	s_waitcnt vmcnt(3)
	v_mul_f64 v[20:21], v[74:75], v[38:39]
	v_mul_f64 v[22:23], v[72:73], v[38:39]
	;; [unrolled: 3-line block ×3, first 2 shown]
	v_fma_f64 v[16:17], v[68:69], v[32:33], v[16:17]
	s_waitcnt vmcnt(0)
	v_mul_f64 v[28:29], v[86:87], v[46:47]
	v_mul_f64 v[30:31], v[84:85], v[46:47]
	v_fma_f64 v[18:19], v[70:71], v[32:33], -v[18:19]
	v_fma_f64 v[20:21], v[72:73], v[36:37], v[20:21]
	v_fma_f64 v[22:23], v[74:75], v[36:37], -v[22:23]
	v_fma_f64 v[24:25], v[76:77], v[80:81], v[24:25]
	;; [unrolled: 2-line block ×3, first 2 shown]
	v_fma_f64 v[30:31], v[86:87], v[44:45], -v[30:31]
	ds_write_b128 v185, v[0:3] offset:2592
	ds_write_b128 v185, v[4:7] offset:3456
	;; [unrolled: 1-line block ×8, first 2 shown]
.LBB0_3:
	s_or_b64 exec, exec, s[6:7]
	s_load_dwordx2 s[6:7], s[4:5], 0x20
	s_load_dwordx2 s[2:3], s[4:5], 0x8
	s_waitcnt lgkmcnt(0)
	s_barrier
	s_waitcnt lgkmcnt(0)
                                        ; implicit-def: $vgpr20_vgpr21
                                        ; implicit-def: $vgpr24_vgpr25
                                        ; implicit-def: $vgpr28_vgpr29
                                        ; implicit-def: $vgpr32_vgpr33
                                        ; implicit-def: $vgpr36_vgpr37
                                        ; implicit-def: $vgpr40_vgpr41
                                        ; implicit-def: $vgpr44_vgpr45
                                        ; implicit-def: $vgpr48_vgpr49
                                        ; implicit-def: $vgpr52_vgpr53
                                        ; implicit-def: $vgpr56_vgpr57
                                        ; implicit-def: $vgpr60_vgpr61
	s_and_saveexec_b64 s[4:5], s[0:1]
	s_cbranch_execz .LBB0_5
; %bb.4:
	ds_read_b128 v[20:23], v185
	ds_read_b128 v[24:27], v185 offset:864
	ds_read_b128 v[28:31], v185 offset:1728
	;; [unrolled: 1-line block ×10, first 2 shown]
.LBB0_5:
	s_or_b64 exec, exec, s[4:5]
	s_waitcnt lgkmcnt(0)
	v_add_f64 v[4:5], v[26:27], -v[62:63]
	s_mov_b32 s10, 0xf8bb580b
	s_mov_b32 s11, 0xbfe14ced
	v_add_f64 v[84:85], v[24:25], v[60:61]
	v_add_f64 v[8:9], v[30:31], -v[58:59]
	s_mov_b32 s8, 0x8764f0ba
	s_mov_b32 s9, 0x3feaeb8c
	;; [unrolled: 1-line block ×3, first 2 shown]
	v_mul_f64 v[64:65], v[4:5], s[10:11]
	s_mov_b32 s18, 0x8eee2c13
	v_add_f64 v[6:7], v[24:25], -v[60:61]
	v_add_f64 v[98:99], v[28:29], v[56:57]
	v_mul_f64 v[66:67], v[8:9], s[18:19]
	s_mov_b32 s4, 0xd9c712b6
	s_mov_b32 s5, 0x3fda9628
	v_add_f64 v[86:87], v[26:27], v[62:63]
	v_fma_f64 v[0:1], v[84:85], s[8:9], v[64:65]
	v_add_f64 v[10:11], v[28:29], -v[56:57]
	v_mul_f64 v[68:69], v[6:7], s[10:11]
	v_add_f64 v[12:13], v[34:35], -v[54:55]
	v_fma_f64 v[14:15], v[98:99], s[4:5], v[66:67]
	s_mov_b32 s22, 0x43842ef
	s_mov_b32 s23, 0xbfefac9e
	v_add_f64 v[101:102], v[30:31], v[58:59]
	v_add_f64 v[0:1], v[20:21], v[0:1]
	v_mul_f64 v[70:71], v[10:11], s[18:19]
	v_fma_f64 v[2:3], v[86:87], s[8:9], -v[68:69]
	v_add_f64 v[123:124], v[32:33], v[52:53]
	v_mul_f64 v[72:73], v[12:13], s[22:23]
	s_mov_b32 s16, 0x640f44db
	s_mov_b32 s26, 0xbb3a28a1
	;; [unrolled: 1-line block ×3, first 2 shown]
	v_add_f64 v[0:1], v[14:15], v[0:1]
	v_add_f64 v[14:15], v[38:39], -v[50:51]
	s_mov_b32 s27, 0xbfe82f19
	v_add_f64 v[16:17], v[32:33], -v[52:53]
	v_fma_f64 v[18:19], v[101:102], s[4:5], -v[70:71]
	v_add_f64 v[2:3], v[22:23], v[2:3]
	v_fma_f64 v[80:81], v[123:124], s[16:17], v[72:73]
	v_add_f64 v[137:138], v[36:37], v[48:49]
	s_mov_b32 s20, 0x7f775887
	v_mul_f64 v[76:77], v[14:15], s[26:27]
	s_mov_b32 s21, 0xbfe4f49e
	v_add_f64 v[125:126], v[34:35], v[54:55]
	v_mul_f64 v[74:75], v[16:17], s[22:23]
	v_add_f64 v[2:3], v[18:19], v[2:3]
	v_add_f64 v[18:19], v[36:37], -v[48:49]
	v_add_f64 v[0:1], v[80:81], v[0:1]
	v_add_f64 v[165:166], v[42:43], -v[46:47]
	v_fma_f64 v[90:91], v[137:138], s[20:21], v[76:77]
	v_mul_f64 v[88:89], v[4:5], s[18:19]
	s_mov_b32 s28, 0xfd768dbf
	s_mov_b32 s29, 0xbfd207e7
	v_fma_f64 v[82:83], v[125:126], s[16:17], -v[74:75]
	v_add_f64 v[135:136], v[38:39], v[50:51]
	v_mul_f64 v[78:79], v[18:19], s[26:27]
	v_add_f64 v[177:178], v[40:41], -v[44:45]
	v_add_f64 v[129:130], v[40:41], v[44:45]
	v_mul_f64 v[80:81], v[165:166], s[28:29]
	v_add_f64 v[0:1], v[90:91], v[0:1]
	v_fma_f64 v[94:95], v[84:85], s[4:5], v[88:89]
	v_mul_f64 v[90:91], v[8:9], s[26:27]
	v_mul_f64 v[115:116], v[6:7], s[18:19]
	s_mov_b32 s24, 0x9bcd5057
	s_mov_b32 s25, 0xbfeeb42a
	v_add_f64 v[2:3], v[82:83], v[2:3]
	v_fma_f64 v[92:93], v[135:136], s[20:21], -v[78:79]
	v_add_f64 v[139:140], v[42:43], v[46:47]
	v_mul_f64 v[82:83], v[177:178], s[28:29]
	v_fma_f64 v[103:104], v[129:130], s[24:25], v[80:81]
	v_add_f64 v[94:95], v[20:21], v[94:95]
	v_fma_f64 v[107:108], v[98:99], s[20:21], v[90:91]
	v_fma_f64 v[109:110], v[86:87], s[4:5], -v[115:116]
	v_mul_f64 v[96:97], v[10:11], s[26:27]
	s_mov_b32 s31, 0x3fd207e7
	s_mov_b32 s30, s28
	v_add_f64 v[2:3], v[92:93], v[2:3]
	v_fma_f64 v[105:106], v[139:140], s[24:25], -v[82:83]
	v_mul_f64 v[92:93], v[12:13], s[30:31]
	v_add_f64 v[0:1], v[103:104], v[0:1]
	v_add_f64 v[103:104], v[107:108], v[94:95]
	;; [unrolled: 1-line block ×3, first 2 shown]
	v_fma_f64 v[111:112], v[101:102], s[20:21], -v[96:97]
	v_mul_f64 v[107:108], v[4:5], s[22:23]
	v_mul_f64 v[141:142], v[6:7], s[22:23]
	s_mov_b32 s35, 0x3fefac9e
	s_mov_b32 s34, s22
	v_add_f64 v[2:3], v[105:106], v[2:3]
	v_fma_f64 v[113:114], v[123:124], s[24:25], v[92:93]
	v_mul_f64 v[105:106], v[16:17], s[30:31]
	v_mul_f64 v[94:95], v[14:15], s[34:35]
	v_add_f64 v[117:118], v[111:112], v[109:110]
	v_fma_f64 v[119:120], v[84:85], s[16:17], v[107:108]
	v_mul_f64 v[111:112], v[8:9], s[30:31]
	v_fma_f64 v[121:122], v[86:87], s[16:17], -v[141:142]
	v_mul_f64 v[143:144], v[10:11], s[30:31]
	s_mov_b32 s19, 0x3fed1bb4
	v_add_f64 v[103:104], v[113:114], v[103:104]
	v_fma_f64 v[127:128], v[125:126], s[24:25], -v[105:106]
	v_fma_f64 v[131:132], v[137:138], s[16:17], v[94:95]
	v_mul_f64 v[109:110], v[18:19], s[34:35]
	v_add_f64 v[119:120], v[20:21], v[119:120]
	v_fma_f64 v[133:134], v[98:99], s[24:25], v[111:112]
	v_add_f64 v[145:146], v[22:23], v[121:122]
	v_fma_f64 v[147:148], v[101:102], s[24:25], -v[143:144]
	v_mul_f64 v[113:114], v[12:13], s[18:19]
	v_mul_f64 v[121:122], v[16:17], s[18:19]
	v_add_f64 v[149:150], v[127:128], v[117:118]
	v_add_f64 v[187:188], v[131:132], v[103:104]
	v_fma_f64 v[131:132], v[135:136], s[16:17], -v[109:110]
	v_add_f64 v[133:134], v[133:134], v[119:120]
	v_mul_f64 v[117:118], v[14:15], s[10:11]
	v_add_f64 v[145:146], v[147:148], v[145:146]
	v_fma_f64 v[147:148], v[123:124], s[4:5], v[113:114]
	v_fma_f64 v[151:152], v[125:126], s[4:5], -v[121:122]
	v_mul_f64 v[127:128], v[18:19], s[10:11]
	v_mul_f64 v[159:160], v[4:5], s[28:29]
	v_add_f64 v[189:190], v[131:132], v[149:150]
	v_mul_f64 v[149:150], v[6:7], s[26:27]
	v_fma_f64 v[153:154], v[137:138], s[8:9], v[117:118]
	v_mul_f64 v[181:182], v[6:7], s[28:29]
	v_add_f64 v[147:148], v[147:148], v[133:134]
	v_add_f64 v[151:152], v[151:152], v[145:146]
	v_mul_f64 v[145:146], v[4:5], s[26:27]
	v_fma_f64 v[155:156], v[135:136], s[8:9], -v[127:128]
	s_mov_b32 s31, 0x3fe14ced
	s_mov_b32 s30, s10
	v_mul_f64 v[161:162], v[16:17], s[10:11]
	v_fma_f64 v[163:164], v[84:85], s[24:25], v[159:160]
	v_add_f64 v[195:196], v[153:154], v[147:148]
	v_mul_f64 v[147:148], v[8:9], s[34:35]
	v_fma_f64 v[153:154], v[84:85], s[20:21], v[145:146]
	v_add_f64 v[197:198], v[155:156], v[151:152]
	v_fma_f64 v[155:156], v[86:87], s[20:21], -v[149:150]
	v_mul_f64 v[151:152], v[10:11], s[34:35]
	v_mul_f64 v[167:168], v[8:9], s[30:31]
	v_fma_f64 v[8:9], v[86:87], s[24:25], -v[181:182]
	v_mul_f64 v[183:184], v[10:11], s[30:31]
	v_fma_f64 v[6:7], v[98:99], s[16:17], v[147:148]
	v_add_f64 v[4:5], v[20:21], v[153:154]
	v_mul_f64 v[153:154], v[12:13], s[10:11]
	v_add_f64 v[155:156], v[22:23], v[155:156]
	v_fma_f64 v[157:158], v[101:102], s[16:17], -v[151:152]
	v_fma_f64 v[171:172], v[98:99], s[8:9], v[167:168]
	v_add_f64 v[8:9], v[22:23], v[8:9]
	v_fma_f64 v[173:174], v[101:102], s[8:9], -v[183:184]
	v_mul_f64 v[179:180], v[16:17], s[26:27]
	v_add_f64 v[4:5], v[6:7], v[4:5]
	v_fma_f64 v[10:11], v[123:124], s[8:9], v[153:154]
	v_mul_f64 v[169:170], v[18:19], s[28:29]
	v_add_f64 v[6:7], v[157:158], v[155:156]
	v_fma_f64 v[155:156], v[125:126], s[8:9], -v[161:162]
	v_add_f64 v[157:158], v[20:21], v[163:164]
	v_mul_f64 v[163:164], v[12:13], s[26:27]
	v_add_f64 v[8:9], v[173:174], v[8:9]
	v_fma_f64 v[16:17], v[125:126], s[20:21], -v[179:180]
	v_add_f64 v[4:5], v[10:11], v[4:5]
	v_mul_f64 v[175:176], v[18:19], s[18:19]
	v_mul_f64 v[103:104], v[165:166], s[30:31]
	v_add_f64 v[6:7], v[155:156], v[6:7]
	v_mul_f64 v[155:156], v[14:15], s[28:29]
	v_add_f64 v[10:11], v[171:172], v[157:158]
	v_fma_f64 v[12:13], v[123:124], s[20:21], v[163:164]
	v_mul_f64 v[171:172], v[14:15], s[18:19]
	v_mul_f64 v[119:120], v[177:178], s[30:31]
	;; [unrolled: 1-line block ×4, first 2 shown]
	v_fma_f64 v[18:19], v[135:136], s[24:25], -v[169:170]
	v_fma_f64 v[14:15], v[137:138], s[24:25], v[155:156]
	v_mul_f64 v[157:158], v[165:166], s[18:19]
	v_mul_f64 v[173:174], v[177:178], s[18:19]
	v_add_f64 v[10:11], v[12:13], v[10:11]
	v_add_f64 v[8:9], v[16:17], v[8:9]
	v_fma_f64 v[12:13], v[137:138], s[4:5], v[171:172]
	v_fma_f64 v[16:17], v[135:136], s[4:5], -v[175:176]
	v_mul_f64 v[165:166], v[165:166], s[22:23]
	v_mul_f64 v[177:178], v[177:178], s[22:23]
	v_fma_f64 v[191:192], v[129:130], s[8:9], v[103:104]
	v_fma_f64 v[193:194], v[139:140], s[8:9], -v[119:120]
	v_fma_f64 v[199:200], v[129:130], s[20:21], v[131:132]
	v_fma_f64 v[201:202], v[139:140], s[20:21], -v[133:134]
	v_add_f64 v[4:5], v[14:15], v[4:5]
	v_add_f64 v[6:7], v[18:19], v[6:7]
	v_fma_f64 v[203:204], v[129:130], s[4:5], v[157:158]
	v_fma_f64 v[205:206], v[139:140], s[4:5], -v[173:174]
	v_add_f64 v[207:208], v[12:13], v[10:11]
	v_add_f64 v[209:210], v[16:17], v[8:9]
	;; [unrolled: 4-line block ×3, first 2 shown]
	v_add_f64 v[12:13], v[199:200], v[195:196]
	v_add_f64 v[14:15], v[201:202], v[197:198]
	;; [unrolled: 1-line block ×6, first 2 shown]
	v_mul_lo_u16_e32 v187, 11, v186
	s_barrier
	s_and_saveexec_b64 s[10:11], s[0:1]
	s_cbranch_execz .LBB0_7
; %bb.6:
	v_mul_f64 v[190:191], v[86:87], s[8:9]
	v_mul_f64 v[194:195], v[86:87], s[4:5]
	v_mul_f64 v[198:199], v[86:87], s[16:17]
	v_mul_f64 v[202:203], v[86:87], s[20:21]
	v_mul_f64 v[86:87], v[86:87], s[24:25]
	v_mul_f64 v[188:189], v[84:85], s[8:9]
	v_mul_f64 v[192:193], v[84:85], s[4:5]
	v_mul_f64 v[196:197], v[84:85], s[16:17]
	v_mul_f64 v[200:201], v[84:85], s[20:21]
	v_mul_f64 v[84:85], v[84:85], s[24:25]
	v_mul_f64 v[206:207], v[101:102], s[4:5]
	v_mul_f64 v[210:211], v[101:102], s[20:21]
	v_mul_f64 v[214:215], v[101:102], s[24:25]
	v_mul_f64 v[218:219], v[101:102], s[16:17]
	v_mul_f64 v[101:102], v[101:102], s[8:9]
	v_add_f64 v[86:87], v[181:182], v[86:87]
	v_add_f64 v[149:150], v[149:150], v[202:203]
	;; [unrolled: 1-line block ×4, first 2 shown]
	v_mul_f64 v[204:205], v[98:99], s[4:5]
	v_mul_f64 v[208:209], v[98:99], s[20:21]
	;; [unrolled: 1-line block ×10, first 2 shown]
	v_add_f64 v[101:102], v[183:184], v[101:102]
	v_add_f64 v[86:87], v[22:23], v[86:87]
	v_add_f64 v[84:85], v[84:85], -v[159:160]
	v_add_f64 v[151:152], v[151:152], v[218:219]
	v_add_f64 v[149:150], v[22:23], v[149:150]
	;; [unrolled: 1-line block ×4, first 2 shown]
	v_mul_f64 v[220:221], v[123:124], s[16:17]
	v_mul_f64 v[224:225], v[123:124], s[24:25]
	;; [unrolled: 1-line block ×10, first 2 shown]
	v_add_f64 v[125:126], v[179:180], v[125:126]
	v_add_f64 v[86:87], v[101:102], v[86:87]
	v_add_f64 v[98:99], v[98:99], -v[167:168]
	v_add_f64 v[84:85], v[20:21], v[84:85]
	v_add_f64 v[161:162], v[161:162], v[234:235]
	v_add_f64 v[145:146], v[200:201], -v[145:146]
	v_add_f64 v[149:150], v[151:152], v[149:150]
	v_add_f64 v[26:27], v[26:27], v[34:35]
	;; [unrolled: 1-line block ×3, first 2 shown]
	v_mul_f64 v[236:237], v[137:138], s[20:21]
	v_mul_f64 v[240:241], v[137:138], s[16:17]
	;; [unrolled: 1-line block ×10, first 2 shown]
	v_add_f64 v[135:136], v[175:176], v[135:136]
	v_add_f64 v[86:87], v[125:126], v[86:87]
	v_add_f64 v[123:124], v[123:124], -v[163:164]
	v_add_f64 v[84:85], v[98:99], v[84:85]
	v_add_f64 v[98:99], v[169:170], v[250:251]
	v_add_f64 v[125:126], v[216:217], -v[147:148]
	v_add_f64 v[145:146], v[20:21], v[145:146]
	v_add_f64 v[147:148], v[161:162], v[149:150]
	;; [unrolled: 1-line block ×4, first 2 shown]
	v_mul_f64 v[101:102], v[129:130], s[16:17]
	v_add_f64 v[139:140], v[177:178], v[139:140]
	v_add_f64 v[86:87], v[135:136], v[86:87]
	v_add_f64 v[135:136], v[137:138], -v[171:172]
	v_add_f64 v[123:124], v[123:124], v[84:85]
	v_add_f64 v[137:138], v[173:174], v[218:219]
	v_add_f64 v[149:150], v[232:233], -v[153:154]
	v_add_f64 v[125:126], v[125:126], v[145:146]
	v_add_f64 v[98:99], v[98:99], v[147:148]
	;; [unrolled: 1-line block ×7, first 2 shown]
	v_add_f64 v[40:41], v[188:189], -v[64:65]
	v_add_f64 v[107:108], v[196:197], -v[107:108]
	;; [unrolled: 1-line block ×3, first 2 shown]
	v_add_f64 v[84:85], v[139:140], v[86:87]
	v_add_f64 v[86:87], v[101:102], -v[165:166]
	v_add_f64 v[101:102], v[135:136], v[123:124]
	v_add_f64 v[123:124], v[248:249], -v[155:156]
	v_add_f64 v[125:126], v[149:150], v[125:126]
	v_add_f64 v[98:99], v[137:138], v[98:99]
	;; [unrolled: 1-line block ×10, first 2 shown]
	v_add_f64 v[66:67], v[204:205], -v[66:67]
	v_add_f64 v[40:41], v[20:21], v[40:41]
	v_add_f64 v[107:108], v[20:21], v[107:108]
	v_add_f64 v[64:65], v[208:209], -v[90:91]
	v_add_f64 v[20:21], v[20:21], v[42:43]
	v_add_f64 v[30:31], v[212:213], -v[111:112]
	v_add_f64 v[123:124], v[123:124], v[125:126]
	v_add_f64 v[121:122], v[121:122], v[230:231]
	;; [unrolled: 1-line block ×9, first 2 shown]
	v_add_f64 v[46:47], v[220:221], -v[72:73]
	v_add_f64 v[40:41], v[66:67], v[40:41]
	v_add_f64 v[42:43], v[224:225], -v[92:93]
	v_add_f64 v[20:21], v[64:65], v[20:21]
	;; [unrolled: 2-line block ×3, first 2 shown]
	v_add_f64 v[28:29], v[127:128], v[246:247]
	v_add_f64 v[111:112], v[121:122], v[125:126]
	;; [unrolled: 1-line block ×6, first 2 shown]
	v_mul_f64 v[181:182], v[129:130], s[24:25]
	v_add_f64 v[50:51], v[78:79], v[238:239]
	v_add_f64 v[22:23], v[44:45], v[22:23]
	v_add_f64 v[44:45], v[236:237], -v[76:77]
	v_add_f64 v[40:41], v[46:47], v[40:41]
	v_mul_f64 v[183:184], v[129:130], s[8:9]
	v_add_f64 v[48:49], v[240:241], -v[94:95]
	v_add_f64 v[20:21], v[42:43], v[20:21]
	v_mul_f64 v[179:180], v[129:130], s[20:21]
	;; [unrolled: 3-line block ×3, first 2 shown]
	v_add_f64 v[32:33], v[133:134], v[159:160]
	v_add_f64 v[28:29], v[28:29], v[111:112]
	;; [unrolled: 1-line block ×8, first 2 shown]
	v_add_f64 v[52:53], v[181:182], -v[80:81]
	v_add_f64 v[40:41], v[44:45], v[40:41]
	v_add_f64 v[42:43], v[183:184], -v[103:104]
	v_add_f64 v[20:21], v[48:49], v[20:21]
	;; [unrolled: 2-line block ×4, first 2 shown]
	v_add_f64 v[26:27], v[34:35], v[96:97]
	v_add_f64 v[34:35], v[54:55], v[62:63]
	;; [unrolled: 1-line block ×9, first 2 shown]
	v_lshlrev_b32_e32 v36, 4, v187
	ds_write_b128 v36, v[32:35]
	ds_write_b128 v36, v[28:31] offset:16
	ds_write_b128 v36, v[24:27] offset:32
	;; [unrolled: 1-line block ×10, first 2 shown]
.LBB0_7:
	s_or_b64 exec, exec, s[10:11]
	s_movk_i32 s8, 0x63
	v_add_co_u32_e32 v64, vcc, s8, v186
	s_movk_i32 s8, 0x75
	v_mul_lo_u16_sdwa v20, v186, s8 dst_sel:DWORD dst_unused:UNUSED_PAD src0_sel:BYTE_0 src1_sel:DWORD
	v_sub_u16_sdwa v21, v186, v20 dst_sel:DWORD dst_unused:UNUSED_PAD src0_sel:DWORD src1_sel:BYTE_1
	v_lshrrev_b16_e32 v21, 1, v21
	v_and_b32_e32 v21, 0x7f, v21
	v_add_u16_sdwa v20, v21, v20 dst_sel:DWORD dst_unused:UNUSED_PAD src0_sel:DWORD src1_sel:BYTE_1
	v_lshrrev_b16_e32 v62, 3, v20
	v_mul_lo_u16_e32 v20, 11, v62
	v_sub_u16_e32 v20, v186, v20
	v_and_b32_e32 v63, 0xff, v20
	v_lshlrev_b32_e32 v28, 5, v63
	s_load_dwordx4 s[4:7], s[6:7], 0x0
	s_waitcnt lgkmcnt(0)
	s_barrier
	global_load_dwordx4 v[20:23], v28, s[2:3] offset:16
	global_load_dwordx4 v[24:27], v28, s[2:3]
	v_mul_lo_u16_sdwa v28, v64, s8 dst_sel:DWORD dst_unused:UNUSED_PAD src0_sel:BYTE_0 src1_sel:DWORD
	v_sub_u16_sdwa v29, v64, v28 dst_sel:DWORD dst_unused:UNUSED_PAD src0_sel:DWORD src1_sel:BYTE_1
	v_lshrrev_b16_e32 v29, 1, v29
	v_and_b32_e32 v29, 0x7f, v29
	v_add_u16_sdwa v28, v29, v28 dst_sel:DWORD dst_unused:UNUSED_PAD src0_sel:DWORD src1_sel:BYTE_1
	v_lshrrev_b16_e32 v65, 3, v28
	v_mul_lo_u16_e32 v28, 11, v65
	v_sub_u16_e32 v28, v64, v28
	v_and_b32_e32 v66, 0xff, v28
	v_lshlrev_b32_e32 v36, 5, v66
	global_load_dwordx4 v[32:35], v36, s[2:3]
	global_load_dwordx4 v[28:31], v36, s[2:3] offset:16
	v_mov_b32_e32 v36, 4
	s_movk_i32 s16, 0xf9
	v_lshlrev_b32_sdwa v113, v36, v186 dst_sel:DWORD dst_unused:UNUSED_PAD src0_sel:DWORD src1_sel:WORD_0
	v_mul_lo_u16_sdwa v67, v186, s16 dst_sel:DWORD dst_unused:UNUSED_PAD src0_sel:BYTE_0 src1_sel:DWORD
	ds_read_b128 v[36:39], v113
	ds_read_b128 v[40:43], v113 offset:1584
	ds_read_b128 v[44:47], v113 offset:3168
	;; [unrolled: 1-line block ×5, first 2 shown]
	v_lshrrev_b16_e32 v81, 13, v67
	v_mul_lo_u16_e32 v67, 33, v81
	v_sub_u16_e32 v67, v186, v67
	v_mul_u32_u24_e32 v62, 33, v62
	v_mul_u32_u24_e32 v65, 33, v65
	v_and_b32_e32 v82, 0xff, v67
	v_add_lshl_u32 v115, v62, v63, 4
	v_add_lshl_u32 v114, v65, v66, 4
	s_mov_b32 s8, 0xe8584caa
	s_mov_b32 s9, 0x3febb67a
	;; [unrolled: 1-line block ×4, first 2 shown]
	v_mov_b32_e32 v61, s3
	s_movk_i32 s17, 0x50
	v_mov_b32_e32 v60, s2
	v_mad_u64_u32 v[60:61], s[16:17], v82, s17, v[60:61]
	s_waitcnt vmcnt(0) lgkmcnt(0)
	s_barrier
	v_lshlrev_b32_e32 v99, 5, v186
	v_mul_f64 v[67:68], v[54:55], v[22:23]
	v_mul_f64 v[62:63], v[46:47], v[26:27]
	;; [unrolled: 1-line block ×4, first 2 shown]
	v_fma_f64 v[52:53], v[52:53], v[20:21], -v[67:68]
	v_fma_f64 v[44:45], v[44:45], v[24:25], -v[62:63]
	v_fma_f64 v[46:47], v[46:47], v[24:25], v[65:66]
	v_mul_f64 v[71:72], v[50:51], v[34:35]
	v_mul_f64 v[73:74], v[48:49], v[34:35]
	;; [unrolled: 1-line block ×4, first 2 shown]
	v_fma_f64 v[54:55], v[54:55], v[20:21], v[69:70]
	v_add_f64 v[62:63], v[36:37], v[44:45]
	v_add_f64 v[65:66], v[44:45], v[52:53]
	v_fma_f64 v[48:49], v[48:49], v[32:33], -v[71:72]
	v_fma_f64 v[50:51], v[50:51], v[32:33], v[73:74]
	v_fma_f64 v[56:57], v[56:57], v[28:29], -v[75:76]
	v_fma_f64 v[58:59], v[58:59], v[28:29], v[77:78]
	v_add_f64 v[67:68], v[46:47], -v[54:55]
	v_add_f64 v[69:70], v[38:39], v[46:47]
	v_add_f64 v[46:47], v[46:47], v[54:55]
	v_add_f64 v[71:72], v[44:45], -v[52:53]
	v_add_f64 v[44:45], v[40:41], v[48:49]
	v_add_f64 v[77:78], v[42:43], v[50:51]
	;; [unrolled: 1-line block ×3, first 2 shown]
	v_add_f64 v[75:76], v[50:51], -v[58:59]
	v_add_f64 v[50:51], v[50:51], v[58:59]
	v_add_f64 v[79:80], v[48:49], -v[56:57]
	v_fma_f64 v[48:49], v[65:66], -0.5, v[36:37]
	v_add_f64 v[36:37], v[62:63], v[52:53]
	v_fma_f64 v[52:53], v[46:47], -0.5, v[38:39]
	v_add_f64 v[38:39], v[69:70], v[54:55]
	;; [unrolled: 2-line block ×4, first 2 shown]
	v_fma_f64 v[44:45], v[67:68], s[8:9], v[48:49]
	v_fma_f64 v[48:49], v[67:68], s[10:11], v[48:49]
	;; [unrolled: 1-line block ×8, first 2 shown]
	ds_write_b128 v115, v[36:39]
	ds_write_b128 v115, v[44:47] offset:176
	ds_write_b128 v115, v[48:51] offset:352
	ds_write_b128 v114, v[40:43]
	ds_write_b128 v114, v[52:55] offset:176
	ds_write_b128 v114, v[56:59] offset:352
	s_waitcnt lgkmcnt(0)
	s_barrier
	global_load_dwordx4 v[36:39], v[60:61], off offset:352
	global_load_dwordx4 v[44:47], v[60:61], off offset:368
	;; [unrolled: 1-line block ×5, first 2 shown]
	v_mul_u32_u24_e32 v56, 0xc6, v81
	v_add_lshl_u32 v116, v56, v82, 4
	ds_read_b128 v[56:59], v113
	ds_read_b128 v[60:63], v113 offset:1584
	ds_read_b128 v[65:68], v113 offset:3168
	;; [unrolled: 1-line block ×5, first 2 shown]
	s_waitcnt vmcnt(0) lgkmcnt(0)
	s_barrier
	v_mul_f64 v[81:82], v[62:63], v[38:39]
	v_mul_f64 v[83:84], v[60:61], v[38:39]
	;; [unrolled: 1-line block ×10, first 2 shown]
	v_fma_f64 v[69:70], v[69:70], v[40:41], -v[87:88]
	v_fma_f64 v[71:72], v[71:72], v[40:41], v[89:90]
	v_fma_f64 v[79:80], v[79:80], v[48:49], v[91:92]
	v_fma_f64 v[77:78], v[77:78], v[48:49], -v[93:94]
	v_fma_f64 v[65:66], v[65:66], v[44:45], -v[85:86]
	;; [unrolled: 1-line block ×3, first 2 shown]
	v_fma_f64 v[62:63], v[62:63], v[36:37], v[83:84]
	v_fma_f64 v[67:68], v[67:68], v[44:45], v[95:96]
	v_fma_f64 v[73:74], v[73:74], v[52:53], -v[97:98]
	v_fma_f64 v[75:76], v[75:76], v[52:53], v[101:102]
	v_add_f64 v[81:82], v[71:72], v[79:80]
	v_add_f64 v[83:84], v[69:70], v[77:78]
	;; [unrolled: 1-line block ×3, first 2 shown]
	v_add_f64 v[93:94], v[71:72], -v[79:80]
	v_add_f64 v[95:96], v[69:70], -v[77:78]
	v_add_f64 v[91:92], v[58:59], v[67:68]
	v_add_f64 v[87:88], v[65:66], v[73:74]
	v_add_f64 v[89:90], v[67:68], -v[75:76]
	v_fma_f64 v[81:82], v[81:82], -0.5, v[62:63]
	v_fma_f64 v[83:84], v[83:84], -0.5, v[60:61]
	v_add_f64 v[67:68], v[67:68], v[75:76]
	v_add_f64 v[65:66], v[65:66], -v[73:74]
	v_add_f64 v[60:61], v[60:61], v[69:70]
	v_add_f64 v[62:63], v[62:63], v[71:72]
	;; [unrolled: 1-line block ×3, first 2 shown]
	v_fma_f64 v[56:57], v[87:88], -0.5, v[56:57]
	v_fma_f64 v[71:72], v[95:96], s[10:11], v[81:82]
	v_fma_f64 v[73:74], v[93:94], s[10:11], v[83:84]
	;; [unrolled: 1-line block ×4, first 2 shown]
	v_fma_f64 v[58:59], v[67:68], -0.5, v[58:59]
	v_add_f64 v[62:63], v[62:63], v[79:80]
	v_add_f64 v[60:61], v[60:61], v[77:78]
	;; [unrolled: 1-line block ×3, first 2 shown]
	v_mul_f64 v[67:68], v[71:72], s[8:9]
	v_mul_f64 v[77:78], v[73:74], -0.5
	v_mul_f64 v[79:80], v[83:84], s[10:11]
	v_mul_f64 v[85:86], v[81:82], -0.5
	v_fma_f64 v[87:88], v[89:90], s[8:9], v[56:57]
	v_fma_f64 v[91:92], v[65:66], s[10:11], v[58:59]
	;; [unrolled: 1-line block ×4, first 2 shown]
	v_fma_f64 v[83:84], v[83:84], 0.5, v[67:68]
	v_fma_f64 v[77:78], v[81:82], s[8:9], v[77:78]
	v_fma_f64 v[79:80], v[71:72], 0.5, v[79:80]
	v_fma_f64 v[81:82], v[73:74], s[10:11], v[85:86]
	v_add_f64 v[56:57], v[69:70], v[60:61]
	v_add_f64 v[58:59], v[75:76], v[62:63]
	v_add_f64 v[60:61], v[69:70], -v[60:61]
	v_add_f64 v[62:63], v[75:76], -v[62:63]
	v_add_f64 v[65:66], v[87:88], v[83:84]
	v_add_f64 v[69:70], v[89:90], v[77:78]
	;; [unrolled: 1-line block ×4, first 2 shown]
	v_add_f64 v[73:74], v[87:88], -v[83:84]
	v_add_f64 v[75:76], v[91:92], -v[79:80]
	;; [unrolled: 1-line block ×4, first 2 shown]
	ds_write_b128 v116, v[56:59]
	ds_write_b128 v116, v[60:63] offset:1584
	ds_write_b128 v116, v[65:68] offset:528
	;; [unrolled: 1-line block ×5, first 2 shown]
	v_lshlrev_b32_e32 v72, 5, v64
	s_waitcnt lgkmcnt(0)
	s_barrier
	global_load_dwordx4 v[60:63], v99, s[2:3] offset:2992
	global_load_dwordx4 v[56:59], v99, s[2:3] offset:3008
	;; [unrolled: 1-line block ×4, first 2 shown]
	ds_read_b128 v[72:75], v113 offset:3168
	ds_read_b128 v[76:79], v113 offset:6336
	;; [unrolled: 1-line block ×4, first 2 shown]
	s_waitcnt vmcnt(3) lgkmcnt(3)
	v_mul_f64 v[88:89], v[74:75], v[62:63]
	v_mul_f64 v[90:91], v[72:73], v[62:63]
	s_waitcnt vmcnt(2) lgkmcnt(2)
	v_mul_f64 v[92:93], v[78:79], v[58:59]
	v_mul_f64 v[94:95], v[76:77], v[58:59]
	;; [unrolled: 3-line block ×4, first 2 shown]
	v_fma_f64 v[88:89], v[72:73], v[60:61], -v[88:89]
	v_fma_f64 v[90:91], v[74:75], v[60:61], v[90:91]
	v_fma_f64 v[92:93], v[76:77], v[56:57], -v[92:93]
	v_fma_f64 v[94:95], v[78:79], v[56:57], v[94:95]
	;; [unrolled: 2-line block ×4, first 2 shown]
	ds_read_b128 v[72:75], v113
	ds_read_b128 v[76:79], v113 offset:1584
	v_add_f64 v[98:99], v[88:89], v[92:93]
	v_add_f64 v[101:102], v[90:91], -v[94:95]
	s_waitcnt lgkmcnt(1)
	v_add_f64 v[96:97], v[72:73], v[88:89]
	v_add_f64 v[103:104], v[74:75], v[90:91]
	;; [unrolled: 1-line block ×4, first 2 shown]
	v_add_f64 v[109:110], v[82:83], -v[86:87]
	s_waitcnt lgkmcnt(0)
	v_add_f64 v[111:112], v[78:79], v[82:83]
	v_add_f64 v[82:83], v[82:83], v[86:87]
	v_add_f64 v[88:89], v[88:89], -v[92:93]
	v_add_f64 v[105:106], v[76:77], v[80:81]
	v_add_f64 v[117:118], v[80:81], -v[84:85]
	v_fma_f64 v[98:99], v[98:99], -0.5, v[72:73]
	v_add_f64 v[72:73], v[96:97], v[92:93]
	v_fma_f64 v[90:91], v[90:91], -0.5, v[74:75]
	v_add_f64 v[74:75], v[103:104], v[94:95]
	v_fma_f64 v[92:93], v[107:108], -0.5, v[76:77]
	v_fma_f64 v[94:95], v[82:83], -0.5, v[78:79]
	v_add_f64 v[80:81], v[105:106], v[84:85]
	v_add_f64 v[82:83], v[111:112], v[86:87]
	v_fma_f64 v[76:77], v[101:102], s[8:9], v[98:99]
	v_fma_f64 v[84:85], v[101:102], s[10:11], v[98:99]
	;; [unrolled: 1-line block ×8, first 2 shown]
	ds_write_b128 v113, v[72:75]
	ds_write_b128 v113, v[80:83] offset:1584
	ds_write_b128 v113, v[76:79] offset:3168
	;; [unrolled: 1-line block ×5, first 2 shown]
	s_waitcnt lgkmcnt(0)
	s_barrier
	s_and_saveexec_b64 s[8:9], s[0:1]
	s_cbranch_execz .LBB0_9
; %bb.8:
	v_mov_b32_e32 v96, s15
	v_add_co_u32_e32 v133, vcc, s14, v185
	v_addc_co_u32_e32 v134, vcc, 0, v96, vcc
	v_add_co_u32_e32 v117, vcc, 0x2520, v133
	s_mov_b64 s[2:3], vcc
	v_add_co_u32_e32 v96, vcc, 0x2000, v133
	v_addc_co_u32_e32 v97, vcc, 0, v134, vcc
	global_load_dwordx4 v[96:99], v[96:97], off offset:1312
	v_addc_co_u32_e64 v118, vcc, 0, v134, s[2:3]
	global_load_dwordx4 v[101:104], v[117:118], off offset:864
	global_load_dwordx4 v[105:108], v[117:118], off offset:1728
	;; [unrolled: 1-line block ×3, first 2 shown]
	s_movk_i32 s10, 0x3000
	v_add_co_u32_e32 v129, vcc, s10, v133
	s_movk_i32 s11, 0x4000
	v_addc_co_u32_e32 v130, vcc, 0, v134, vcc
	global_load_dwordx4 v[117:120], v[117:118], off offset:3456
	s_nop 0
	global_load_dwordx4 v[121:124], v[129:130], off offset:1536
	global_load_dwordx4 v[125:128], v[129:130], off offset:2400
	s_nop 0
	global_load_dwordx4 v[129:132], v[129:130], off offset:3264
	v_add_co_u32_e32 v141, vcc, s11, v133
	v_addc_co_u32_e32 v142, vcc, 0, v134, vcc
	global_load_dwordx4 v[133:136], v[141:142], off offset:32
	global_load_dwordx4 v[137:140], v[141:142], off offset:896
	s_nop 0
	global_load_dwordx4 v[141:144], v[141:142], off offset:1760
	ds_read_b128 v[145:148], v113
	s_waitcnt vmcnt(10) lgkmcnt(0)
	v_mul_f64 v[149:150], v[147:148], v[98:99]
	v_mul_f64 v[98:99], v[145:146], v[98:99]
	v_fma_f64 v[145:146], v[145:146], v[96:97], -v[149:150]
	v_fma_f64 v[147:148], v[147:148], v[96:97], v[98:99]
	ds_write_b128 v113, v[145:148]
	ds_read_b128 v[96:99], v185 offset:864
	ds_read_b128 v[145:148], v185 offset:1728
	;; [unrolled: 1-line block ×10, first 2 shown]
	s_waitcnt vmcnt(9) lgkmcnt(9)
	v_mul_f64 v[181:182], v[98:99], v[103:104]
	v_mul_f64 v[103:104], v[96:97], v[103:104]
	s_waitcnt vmcnt(8) lgkmcnt(8)
	v_mul_f64 v[183:184], v[147:148], v[107:108]
	v_mul_f64 v[107:108], v[145:146], v[107:108]
	;; [unrolled: 3-line block ×10, first 2 shown]
	v_fma_f64 v[96:97], v[96:97], v[101:102], -v[181:182]
	v_fma_f64 v[98:99], v[98:99], v[101:102], v[103:104]
	v_fma_f64 v[101:102], v[145:146], v[105:106], -v[183:184]
	v_fma_f64 v[103:104], v[147:148], v[105:106], v[107:108]
	;; [unrolled: 2-line block ×10, first 2 shown]
	ds_write_b128 v185, v[96:99] offset:864
	ds_write_b128 v185, v[101:104] offset:1728
	;; [unrolled: 1-line block ×10, first 2 shown]
.LBB0_9:
	s_or_b64 exec, exec, s[8:9]
	s_waitcnt lgkmcnt(0)
	s_barrier
	s_and_saveexec_b64 s[2:3], s[0:1]
	s_cbranch_execz .LBB0_11
; %bb.10:
	ds_read_b128 v[72:75], v113
	ds_read_b128 v[76:79], v113 offset:864
	ds_read_b128 v[84:87], v113 offset:1728
	;; [unrolled: 1-line block ×10, first 2 shown]
.LBB0_11:
	s_or_b64 exec, exec, s[2:3]
	s_waitcnt lgkmcnt(0)
	s_barrier
	s_and_saveexec_b64 s[2:3], s[0:1]
	s_cbranch_execz .LBB0_13
; %bb.12:
	v_add_f64 v[137:138], v[76:77], -v[0:1]
	v_add_f64 v[141:142], v[78:79], -v[2:3]
	s_mov_b32 s24, 0xfd768dbf
	s_mov_b32 s25, 0xbfd207e7
	v_add_f64 v[139:140], v[84:85], -v[16:17]
	v_add_f64 v[143:144], v[78:79], v[2:3]
	v_add_f64 v[145:146], v[86:87], -v[18:19]
	v_add_f64 v[147:148], v[76:77], v[0:1]
	v_mul_f64 v[119:120], v[137:138], s[24:25]
	v_mul_f64 v[123:124], v[141:142], s[24:25]
	s_mov_b32 s30, 0xf8bb580b
	s_mov_b32 s22, 0x9bcd5057
	;; [unrolled: 1-line block ×4, first 2 shown]
	v_add_f64 v[111:112], v[80:81], -v[12:13]
	v_mul_f64 v[121:122], v[139:140], s[30:31]
	v_add_f64 v[149:150], v[86:87], v[18:19]
	v_fma_f64 v[125:126], v[143:144], s[22:23], v[119:120]
	v_add_f64 v[151:152], v[82:83], -v[14:15]
	v_add_f64 v[153:154], v[84:85], v[16:17]
	v_mul_f64 v[127:128], v[145:146], s[30:31]
	v_fma_f64 v[129:130], v[147:148], s[22:23], -v[123:124]
	s_mov_b32 s20, 0xbb3a28a1
	s_mov_b32 s26, 0x8764f0ba
	;; [unrolled: 1-line block ×4, first 2 shown]
	v_add_f64 v[109:110], v[88:89], -v[8:9]
	v_mul_f64 v[98:99], v[111:112], s[20:21]
	v_add_f64 v[107:108], v[82:83], v[14:15]
	v_fma_f64 v[131:132], v[149:150], s[26:27], v[121:122]
	v_add_f64 v[125:126], v[74:75], v[125:126]
	v_add_f64 v[155:156], v[90:91], -v[10:11]
	v_add_f64 v[157:158], v[80:81], v[12:13]
	v_mul_f64 v[133:134], v[151:152], s[20:21]
	v_fma_f64 v[135:136], v[153:154], s[26:27], -v[127:128]
	v_add_f64 v[129:130], v[72:73], v[129:130]
	s_mov_b32 s18, 0x7f775887
	s_mov_b32 s11, 0x3fed1bb4
	;; [unrolled: 1-line block ×4, first 2 shown]
	v_add_f64 v[103:104], v[92:93], -v[4:5]
	v_mul_f64 v[96:97], v[109:110], s[10:11]
	v_add_f64 v[105:106], v[90:91], v[10:11]
	v_fma_f64 v[159:160], v[107:108], s[18:19], v[98:99]
	v_fma_f64 v[119:120], v[143:144], s[22:23], -v[119:120]
	v_add_f64 v[125:126], v[131:132], v[125:126]
	v_add_f64 v[161:162], v[94:95], -v[6:7]
	v_add_f64 v[163:164], v[88:89], v[8:9]
	v_mul_f64 v[131:132], v[155:156], s[10:11]
	v_fma_f64 v[165:166], v[157:158], s[18:19], -v[133:134]
	v_add_f64 v[129:130], v[135:136], v[129:130]
	s_mov_b32 s8, 0x43842ef
	s_mov_b32 s16, 0xd9c712b6
	;; [unrolled: 1-line block ×4, first 2 shown]
	v_add_f64 v[101:102], v[94:95], v[6:7]
	v_mul_f64 v[117:118], v[103:104], s[8:9]
	v_fma_f64 v[121:122], v[149:150], s[26:27], -v[121:122]
	v_add_f64 v[119:120], v[74:75], v[119:120]
	v_fma_f64 v[135:136], v[105:106], s[16:17], v[96:97]
	v_add_f64 v[125:126], v[159:160], v[125:126]
	v_add_f64 v[159:160], v[92:93], v[4:5]
	v_mul_f64 v[167:168], v[161:162], s[8:9]
	v_fma_f64 v[169:170], v[163:164], s[16:17], -v[131:132]
	v_add_f64 v[129:130], v[165:166], v[129:130]
	s_mov_b32 s28, 0x640f44db
	s_mov_b32 s29, 0xbfc2375f
	v_fma_f64 v[98:99], v[107:108], s[18:19], -v[98:99]
	v_add_f64 v[119:120], v[121:122], v[119:120]
	v_fma_f64 v[121:122], v[101:102], s[28:29], v[117:118]
	v_add_f64 v[125:126], v[135:136], v[125:126]
	v_fma_f64 v[135:136], v[159:160], s[28:29], -v[167:168]
	v_add_f64 v[129:130], v[169:170], v[129:130]
	v_fma_f64 v[165:166], v[105:106], s[16:17], -v[96:97]
	v_fma_f64 v[123:124], v[147:148], s[22:23], v[123:124]
	s_mov_b32 s37, 0x3fefac9e
	v_add_f64 v[119:120], v[98:99], v[119:120]
	s_mov_b32 s36, s8
	v_add_f64 v[98:99], v[121:122], v[125:126]
	v_mul_f64 v[125:126], v[137:138], s[20:21]
	v_add_f64 v[96:97], v[135:136], v[129:130]
	v_fma_f64 v[129:130], v[157:158], s[18:19], v[133:134]
	v_mul_f64 v[133:134], v[141:142], s[20:21]
	v_fma_f64 v[121:122], v[159:160], s[28:29], v[167:168]
	v_add_f64 v[119:120], v[165:166], v[119:120]
	v_fma_f64 v[127:128], v[153:154], s[26:27], v[127:128]
	v_mul_f64 v[135:136], v[139:140], s[36:37]
	v_fma_f64 v[165:166], v[143:144], s[18:19], v[125:126]
	v_add_f64 v[123:124], v[72:73], v[123:124]
	v_mul_f64 v[167:168], v[145:146], s[36:37]
	v_fma_f64 v[169:170], v[147:148], s[18:19], -v[133:134]
	s_mov_b32 s35, 0xbfe14ced
	s_mov_b32 s34, s30
	v_mul_f64 v[171:172], v[111:112], s[34:35]
	v_fma_f64 v[173:174], v[149:150], s[28:29], v[135:136]
	v_add_f64 v[165:166], v[74:75], v[165:166]
	v_add_f64 v[123:124], v[127:128], v[123:124]
	v_fma_f64 v[127:128], v[163:164], s[16:17], v[131:132]
	v_mul_f64 v[131:132], v[151:152], s[34:35]
	v_fma_f64 v[175:176], v[153:154], s[28:29], -v[167:168]
	v_add_f64 v[169:170], v[72:73], v[169:170]
	v_mul_f64 v[177:178], v[109:110], s[24:25]
	v_fma_f64 v[179:180], v[107:108], s[26:27], v[171:172]
	v_add_f64 v[165:166], v[173:174], v[165:166]
	v_add_f64 v[123:124], v[129:130], v[123:124]
	v_fma_f64 v[125:126], v[143:144], s[18:19], -v[125:126]
	v_mul_f64 v[129:130], v[155:156], s[24:25]
	v_fma_f64 v[173:174], v[157:158], s[26:27], -v[131:132]
	v_add_f64 v[169:170], v[175:176], v[169:170]
	v_mul_f64 v[175:176], v[103:104], s[10:11]
	v_fma_f64 v[181:182], v[105:106], s[22:23], v[177:178]
	v_add_f64 v[165:166], v[179:180], v[165:166]
	v_fma_f64 v[135:136], v[149:150], s[28:29], -v[135:136]
	v_add_f64 v[125:126], v[74:75], v[125:126]
	v_mul_f64 v[179:180], v[161:162], s[10:11]
	v_fma_f64 v[183:184], v[163:164], s[22:23], -v[129:130]
	v_add_f64 v[169:170], v[173:174], v[169:170]
	v_fma_f64 v[133:134], v[147:148], s[18:19], v[133:134]
	v_fma_f64 v[117:118], v[101:102], s[28:29], -v[117:118]
	v_add_f64 v[123:124], v[127:128], v[123:124]
	v_fma_f64 v[127:128], v[101:102], s[16:17], v[175:176]
	v_add_f64 v[125:126], v[135:136], v[125:126]
	v_add_f64 v[135:136], v[181:182], v[165:166]
	v_fma_f64 v[165:166], v[159:160], s[16:17], -v[179:180]
	v_add_f64 v[169:170], v[183:184], v[169:170]
	v_fma_f64 v[167:168], v[153:154], s[28:29], v[167:168]
	v_add_f64 v[133:134], v[72:73], v[133:134]
	v_fma_f64 v[171:172], v[107:108], s[26:27], -v[171:172]
	v_add_f64 v[119:120], v[117:118], v[119:120]
	v_add_f64 v[117:118], v[121:122], v[123:124]
	;; [unrolled: 1-line block ×3, first 2 shown]
	v_fma_f64 v[131:132], v[157:158], s[26:27], v[131:132]
	v_add_f64 v[121:122], v[165:166], v[169:170]
	v_mul_f64 v[135:136], v[137:138], s[8:9]
	v_add_f64 v[133:134], v[167:168], v[133:134]
	v_mul_f64 v[165:166], v[141:142], s[8:9]
	s_mov_b32 s39, 0x3fd207e7
	s_mov_b32 s38, s24
	v_fma_f64 v[173:174], v[105:106], s[22:23], -v[177:178]
	v_add_f64 v[125:126], v[171:172], v[125:126]
	v_fma_f64 v[129:130], v[163:164], s[22:23], v[129:130]
	v_mul_f64 v[167:168], v[139:140], s[38:39]
	v_fma_f64 v[169:170], v[143:144], s[28:29], v[135:136]
	v_add_f64 v[131:132], v[131:132], v[133:134]
	v_mul_f64 v[133:134], v[145:146], s[38:39]
	v_fma_f64 v[171:172], v[147:148], s[28:29], -v[165:166]
	v_fma_f64 v[127:128], v[101:102], s[16:17], -v[175:176]
	v_add_f64 v[125:126], v[173:174], v[125:126]
	v_mul_f64 v[173:174], v[111:112], s[10:11]
	v_fma_f64 v[175:176], v[149:150], s[22:23], v[167:168]
	v_add_f64 v[169:170], v[74:75], v[169:170]
	v_add_f64 v[129:130], v[129:130], v[131:132]
	v_mul_f64 v[177:178], v[151:152], s[10:11]
	v_fma_f64 v[131:132], v[143:144], s[28:29], -v[135:136]
	v_fma_f64 v[135:136], v[153:154], s[22:23], -v[133:134]
	v_add_f64 v[171:172], v[72:73], v[171:172]
	v_add_f64 v[127:128], v[127:128], v[125:126]
	v_fma_f64 v[125:126], v[159:160], s[16:17], v[179:180]
	v_mul_f64 v[179:180], v[109:110], s[34:35]
	v_fma_f64 v[181:182], v[107:108], s[16:17], v[173:174]
	v_add_f64 v[169:170], v[175:176], v[169:170]
	v_mul_f64 v[175:176], v[155:156], s[34:35]
	v_fma_f64 v[167:168], v[149:150], s[22:23], -v[167:168]
	v_add_f64 v[131:132], v[74:75], v[131:132]
	v_fma_f64 v[183:184], v[157:158], s[16:17], -v[177:178]
	v_add_f64 v[135:136], v[135:136], v[171:172]
	v_mul_f64 v[171:172], v[103:104], s[20:21]
	v_fma_f64 v[188:189], v[105:106], s[26:27], v[179:180]
	v_add_f64 v[169:170], v[181:182], v[169:170]
	v_mul_f64 v[181:182], v[161:162], s[20:21]
	v_fma_f64 v[173:174], v[107:108], s[16:17], -v[173:174]
	v_add_f64 v[131:132], v[167:168], v[131:132]
	v_fma_f64 v[167:168], v[163:164], s[26:27], -v[175:176]
	v_add_f64 v[135:136], v[183:184], v[135:136]
	v_fma_f64 v[165:166], v[147:148], s[28:29], v[165:166]
	v_add_f64 v[125:126], v[125:126], v[129:130]
	v_fma_f64 v[129:130], v[101:102], s[18:19], v[171:172]
	v_add_f64 v[169:170], v[188:189], v[169:170]
	v_fma_f64 v[179:180], v[105:106], s[26:27], -v[179:180]
	v_add_f64 v[131:132], v[173:174], v[131:132]
	v_fma_f64 v[173:174], v[159:160], s[18:19], -v[181:182]
	v_add_f64 v[135:136], v[167:168], v[135:136]
	v_fma_f64 v[133:134], v[153:154], s[22:23], v[133:134]
	v_add_f64 v[165:166], v[72:73], v[165:166]
	s_mov_b32 s11, 0xbfed1bb4
	v_add_f64 v[78:79], v[74:75], v[78:79]
	v_add_f64 v[76:77], v[72:73], v[76:77]
	;; [unrolled: 1-line block ×5, first 2 shown]
	v_fma_f64 v[173:174], v[157:158], s[16:17], v[177:178]
	v_add_f64 v[133:134], v[133:134], v[165:166]
	v_fma_f64 v[167:168], v[101:102], s[18:19], -v[171:172]
	v_mul_f64 v[171:172], v[137:138], s[10:11]
	v_mul_f64 v[169:170], v[141:142], s[10:11]
	v_fma_f64 v[165:166], v[163:164], s[26:27], v[175:176]
	v_add_f64 v[78:79], v[78:79], v[86:87]
	v_add_f64 v[84:85], v[76:77], v[84:85]
	v_mul_f64 v[177:178], v[139:140], s[20:21]
	v_add_f64 v[133:134], v[173:174], v[133:134]
	v_add_f64 v[135:136], v[167:168], v[179:180]
	v_mul_f64 v[167:168], v[145:146], s[20:21]
	v_fma_f64 v[175:176], v[147:148], s[16:17], -v[169:170]
	v_mul_f64 v[179:180], v[111:112], s[38:39]
	v_add_f64 v[78:79], v[78:79], v[82:83]
	v_add_f64 v[80:81], v[84:85], v[80:81]
	v_fma_f64 v[188:189], v[149:150], s[18:19], v[177:178]
	v_add_f64 v[133:134], v[165:166], v[133:134]
	v_fma_f64 v[165:166], v[143:144], s[16:17], -v[171:172]
	v_fma_f64 v[190:191], v[153:154], s[18:19], -v[167:168]
	v_add_f64 v[175:176], v[72:73], v[175:176]
	v_fma_f64 v[177:178], v[149:150], s[18:19], -v[177:178]
	v_fma_f64 v[183:184], v[143:144], s[16:17], v[171:172]
	v_add_f64 v[78:79], v[78:79], v[90:91]
	v_add_f64 v[80:81], v[80:81], v[88:89]
	v_fma_f64 v[173:174], v[159:160], s[18:19], v[181:182]
	v_add_f64 v[165:166], v[74:75], v[165:166]
	v_fma_f64 v[194:195], v[107:108], s[22:23], v[179:180]
	v_add_f64 v[175:176], v[190:191], v[175:176]
	v_mul_f64 v[190:191], v[103:104], s[30:31]
	v_fma_f64 v[179:180], v[107:108], s[22:23], -v[179:180]
	v_fma_f64 v[169:170], v[147:148], s[16:17], v[169:170]
	v_mul_f64 v[137:138], v[137:138], s[34:35]
	v_mul_f64 v[88:89], v[141:142], s[34:35]
	v_add_f64 v[165:166], v[177:178], v[165:166]
	v_add_f64 v[183:184], v[74:75], v[183:184]
	v_mul_f64 v[181:182], v[151:152], s[38:39]
	v_add_f64 v[78:79], v[78:79], v[94:95]
	v_add_f64 v[80:81], v[80:81], v[92:93]
	;; [unrolled: 1-line block ×3, first 2 shown]
	v_fma_f64 v[173:174], v[101:102], s[26:27], v[190:191]
	v_fma_f64 v[167:168], v[153:154], s[18:19], v[167:168]
	v_add_f64 v[169:170], v[72:73], v[169:170]
	v_add_f64 v[165:166], v[179:180], v[165:166]
	v_fma_f64 v[179:180], v[101:102], s[26:27], -v[190:191]
	v_mul_f64 v[139:140], v[139:140], s[10:11]
	v_fma_f64 v[190:191], v[143:144], s[26:27], v[137:138]
	v_fma_f64 v[137:138], v[143:144], s[26:27], -v[137:138]
	v_mul_f64 v[141:142], v[145:146], s[10:11]
	v_fma_f64 v[92:93], v[147:148], s[26:27], v[88:89]
	v_mul_f64 v[192:193], v[109:110], s[36:37]
	v_add_f64 v[183:184], v[188:189], v[183:184]
	v_fma_f64 v[188:189], v[157:158], s[22:23], -v[181:182]
	v_fma_f64 v[88:89], v[147:148], s[26:27], -v[88:89]
	v_add_f64 v[6:7], v[78:79], v[6:7]
	v_add_f64 v[4:5], v[80:81], v[4:5]
	;; [unrolled: 1-line block ×3, first 2 shown]
	v_mul_f64 v[111:112], v[111:112], s[8:9]
	v_fma_f64 v[86:87], v[149:150], s[16:17], v[139:140]
	v_add_f64 v[169:170], v[74:75], v[190:191]
	v_mul_f64 v[94:95], v[151:152], s[8:9]
	v_fma_f64 v[139:140], v[149:150], s[16:17], -v[139:140]
	v_add_f64 v[74:75], v[74:75], v[137:138]
	v_fma_f64 v[137:138], v[153:154], s[16:17], v[141:142]
	v_add_f64 v[78:79], v[72:73], v[92:93]
	v_mul_f64 v[171:172], v[155:156], s[36:37]
	v_add_f64 v[175:176], v[188:189], v[175:176]
	v_fma_f64 v[188:189], v[105:106], s[28:29], -v[192:193]
	v_fma_f64 v[181:182], v[157:158], s[22:23], v[181:182]
	v_fma_f64 v[80:81], v[153:154], s[16:17], -v[141:142]
	v_add_f64 v[72:73], v[72:73], v[88:89]
	v_add_f64 v[6:7], v[6:7], v[10:11]
	;; [unrolled: 1-line block ×3, first 2 shown]
	v_mul_f64 v[109:110], v[109:110], s[20:21]
	v_fma_f64 v[82:83], v[107:108], s[28:29], v[111:112]
	v_add_f64 v[84:85], v[86:87], v[169:170]
	v_mul_f64 v[90:91], v[155:156], s[20:21]
	v_fma_f64 v[88:89], v[107:108], s[28:29], -v[111:112]
	v_add_f64 v[74:75], v[139:140], v[74:75]
	v_fma_f64 v[92:93], v[157:158], s[28:29], v[94:95]
	v_add_f64 v[8:9], v[137:138], v[78:79]
	v_fma_f64 v[198:199], v[163:164], s[28:29], -v[171:172]
	v_add_f64 v[165:166], v[188:189], v[165:166]
	v_fma_f64 v[171:172], v[163:164], s[28:29], v[171:172]
	v_add_f64 v[167:168], v[181:182], v[167:168]
	v_fma_f64 v[10:11], v[157:158], s[28:29], -v[94:95]
	v_add_f64 v[72:73], v[80:81], v[72:73]
	v_add_f64 v[6:7], v[6:7], v[14:15]
	v_add_f64 v[4:5], v[4:5], v[12:13]
	v_mul_f64 v[103:104], v[103:104], s[24:25]
	v_add_f64 v[82:83], v[82:83], v[84:85]
	v_mul_f64 v[84:85], v[161:162], s[24:25]
	v_fma_f64 v[78:79], v[105:106], s[18:19], -v[109:110]
	v_add_f64 v[74:75], v[88:89], v[74:75]
	v_fma_f64 v[80:81], v[163:164], s[18:19], v[90:91]
	v_add_f64 v[8:9], v[92:93], v[8:9]
	v_add_f64 v[183:184], v[194:195], v[183:184]
	v_mul_f64 v[194:195], v[161:162], s[30:31]
	v_fma_f64 v[196:197], v[105:106], s[28:29], v[192:193]
	v_add_f64 v[76:77], v[179:180], v[165:166]
	v_add_f64 v[165:166], v[171:172], v[167:168]
	v_fma_f64 v[167:168], v[105:106], s[18:19], v[109:110]
	v_fma_f64 v[12:13], v[163:164], s[18:19], -v[90:91]
	v_add_f64 v[10:11], v[10:11], v[72:73]
	v_add_f64 v[6:7], v[6:7], v[18:19]
	;; [unrolled: 1-line block ×3, first 2 shown]
	v_fma_f64 v[14:15], v[101:102], s[22:23], -v[103:104]
	v_add_f64 v[72:73], v[78:79], v[74:75]
	v_fma_f64 v[74:75], v[159:160], s[22:23], v[84:85]
	v_add_f64 v[18:19], v[80:81], v[8:9]
	v_fma_f64 v[86:87], v[159:160], s[26:27], v[194:195]
	v_add_f64 v[177:178], v[196:197], v[183:184]
	v_fma_f64 v[183:184], v[159:160], s[26:27], -v[194:195]
	v_add_f64 v[175:176], v[198:199], v[175:176]
	v_fma_f64 v[78:79], v[101:102], s[22:23], v[103:104]
	v_add_f64 v[80:81], v[167:168], v[82:83]
	v_fma_f64 v[82:83], v[159:160], s[22:23], -v[84:85]
	v_add_f64 v[84:85], v[12:13], v[10:11]
	v_add_f64 v[8:9], v[6:7], v[2:3]
	;; [unrolled: 1-line block ×6, first 2 shown]
	v_lshlrev_b32_e32 v0, 4, v187
	v_add_f64 v[12:13], v[173:174], v[177:178]
	v_add_f64 v[10:11], v[183:184], v[175:176]
	;; [unrolled: 1-line block ×4, first 2 shown]
	ds_write_b128 v0, v[6:9]
	ds_write_b128 v0, v[2:5] offset:16
	ds_write_b128 v0, v[74:77] offset:32
	;; [unrolled: 1-line block ×10, first 2 shown]
.LBB0_13:
	s_or_b64 exec, exec, s[2:3]
	s_waitcnt lgkmcnt(0)
	s_barrier
	ds_read_b128 v[0:3], v113 offset:3168
	ds_read_b128 v[4:7], v113 offset:6336
	;; [unrolled: 1-line block ×4, first 2 shown]
	s_mov_b32 s2, 0xe8584caa
	s_waitcnt lgkmcnt(3)
	v_mul_f64 v[16:17], v[26:27], v[2:3]
	s_waitcnt lgkmcnt(2)
	v_mul_f64 v[18:19], v[22:23], v[6:7]
	v_mul_f64 v[26:27], v[26:27], v[0:1]
	;; [unrolled: 1-line block ×3, first 2 shown]
	s_mov_b32 s3, 0xbfebb67a
	s_mov_b32 s9, 0x3febb67a
	;; [unrolled: 1-line block ×3, first 2 shown]
	v_fma_f64 v[76:77], v[24:25], v[0:1], v[16:17]
	v_fma_f64 v[78:79], v[20:21], v[4:5], v[18:19]
	s_waitcnt lgkmcnt(1)
	v_mul_f64 v[0:1], v[34:35], v[10:11]
	v_mul_f64 v[4:5], v[34:35], v[8:9]
	s_waitcnt lgkmcnt(0)
	v_mul_f64 v[34:35], v[30:31], v[14:15]
	v_fma_f64 v[2:3], v[24:25], v[2:3], -v[26:27]
	v_fma_f64 v[6:7], v[20:21], v[6:7], -v[22:23]
	v_mul_f64 v[22:23], v[30:31], v[12:13]
	ds_read_b128 v[16:19], v113
	ds_read_b128 v[72:75], v113 offset:1584
	v_add_f64 v[20:21], v[76:77], v[78:79]
	v_fma_f64 v[24:25], v[32:33], v[8:9], v[0:1]
	v_fma_f64 v[10:11], v[32:33], v[10:11], -v[4:5]
	v_fma_f64 v[12:13], v[28:29], v[12:13], v[34:35]
	s_waitcnt lgkmcnt(1)
	v_add_f64 v[0:1], v[16:17], v[76:77]
	v_add_f64 v[8:9], v[2:3], -v[6:7]
	v_fma_f64 v[14:15], v[28:29], v[14:15], -v[22:23]
	s_waitcnt lgkmcnt(0)
	v_fma_f64 v[16:17], v[20:21], -0.5, v[16:17]
	v_add_f64 v[20:21], v[2:3], v[6:7]
	v_add_f64 v[2:3], v[18:19], v[2:3]
	;; [unrolled: 1-line block ×5, first 2 shown]
	v_add_f64 v[28:29], v[10:11], -v[14:15]
	v_add_f64 v[24:25], v[24:25], -v[12:13]
	v_fma_f64 v[4:5], v[8:9], s[2:3], v[16:17]
	v_fma_f64 v[8:9], v[8:9], s[8:9], v[16:17]
	v_add_f64 v[16:17], v[10:11], v[14:15]
	v_fma_f64 v[18:19], v[20:21], -0.5, v[18:19]
	v_add_f64 v[20:21], v[76:77], -v[78:79]
	v_fma_f64 v[22:23], v[22:23], -0.5, v[72:73]
	v_add_f64 v[0:1], v[0:1], v[78:79]
	v_add_f64 v[2:3], v[2:3], v[6:7]
	;; [unrolled: 1-line block ×4, first 2 shown]
	v_fma_f64 v[32:33], v[16:17], -0.5, v[74:75]
	s_barrier
	v_fma_f64 v[6:7], v[20:21], s[8:9], v[18:19]
	v_fma_f64 v[10:11], v[20:21], s[2:3], v[18:19]
	;; [unrolled: 1-line block ×6, first 2 shown]
	ds_write_b128 v115, v[0:3]
	ds_write_b128 v115, v[4:7] offset:176
	ds_write_b128 v115, v[8:11] offset:352
	ds_write_b128 v114, v[12:15]
	ds_write_b128 v114, v[16:19] offset:176
	ds_write_b128 v114, v[20:23] offset:352
	s_waitcnt lgkmcnt(0)
	s_barrier
	ds_read_b128 v[0:3], v113 offset:3168
	ds_read_b128 v[4:7], v113 offset:1584
	;; [unrolled: 1-line block ×5, first 2 shown]
	ds_read_b128 v[20:23], v113
	s_waitcnt lgkmcnt(5)
	v_mul_f64 v[24:25], v[46:47], v[2:3]
	s_waitcnt lgkmcnt(3)
	v_mul_f64 v[26:27], v[54:55], v[10:11]
	;; [unrolled: 2-line block ×4, first 2 shown]
	v_mul_f64 v[28:29], v[38:39], v[4:5]
	v_mul_f64 v[34:35], v[42:43], v[14:15]
	;; [unrolled: 1-line block ×3, first 2 shown]
	s_waitcnt lgkmcnt(0)
	v_fma_f64 v[24:25], v[44:45], v[0:1], v[24:25]
	v_mul_f64 v[0:1], v[46:47], v[0:1]
	v_fma_f64 v[26:27], v[52:53], v[8:9], v[26:27]
	v_mul_f64 v[8:9], v[54:55], v[8:9]
	v_fma_f64 v[14:15], v[40:41], v[14:15], -v[30:31]
	v_fma_f64 v[18:19], v[48:49], v[18:19], -v[32:33]
	v_mul_f64 v[30:31], v[38:39], v[6:7]
	v_fma_f64 v[6:7], v[36:37], v[6:7], -v[28:29]
	v_add_f64 v[28:29], v[20:21], v[24:25]
	v_fma_f64 v[0:1], v[44:45], v[2:3], -v[0:1]
	v_fma_f64 v[2:3], v[40:41], v[12:13], v[34:35]
	v_add_f64 v[12:13], v[24:25], v[26:27]
	v_fma_f64 v[8:9], v[52:53], v[10:11], -v[8:9]
	v_fma_f64 v[10:11], v[48:49], v[16:17], v[42:43]
	v_add_f64 v[16:17], v[14:15], v[18:19]
	v_fma_f64 v[4:5], v[36:37], v[4:5], v[30:31]
	v_add_f64 v[38:39], v[14:15], -v[18:19]
	v_add_f64 v[34:35], v[22:23], v[0:1]
	v_add_f64 v[28:29], v[28:29], v[26:27]
	v_fma_f64 v[12:13], v[12:13], -0.5, v[20:21]
	v_add_f64 v[20:21], v[0:1], -v[8:9]
	v_add_f64 v[30:31], v[2:3], v[10:11]
	v_fma_f64 v[16:17], v[16:17], -0.5, v[6:7]
	v_add_f64 v[32:33], v[2:3], -v[10:11]
	v_add_f64 v[0:1], v[0:1], v[8:9]
	v_add_f64 v[2:3], v[4:5], v[2:3]
	;; [unrolled: 1-line block ×3, first 2 shown]
	s_barrier
	v_fma_f64 v[36:37], v[20:21], s[2:3], v[12:13]
	v_fma_f64 v[30:31], v[30:31], -0.5, v[4:5]
	v_fma_f64 v[20:21], v[20:21], s[8:9], v[12:13]
	v_fma_f64 v[12:13], v[32:33], s[8:9], v[16:17]
	v_fma_f64 v[16:17], v[32:33], s[2:3], v[16:17]
	v_add_f64 v[32:33], v[34:35], v[8:9]
	v_fma_f64 v[0:1], v[0:1], -0.5, v[22:23]
	v_add_f64 v[8:9], v[24:25], -v[26:27]
	v_add_f64 v[18:19], v[6:7], v[18:19]
	v_fma_f64 v[4:5], v[38:39], s[2:3], v[30:31]
	v_fma_f64 v[22:23], v[38:39], s[8:9], v[30:31]
	v_mul_f64 v[24:25], v[12:13], s[2:3]
	v_mul_f64 v[12:13], v[12:13], 0.5
	v_mul_f64 v[26:27], v[16:17], s[2:3]
	v_mul_f64 v[14:15], v[16:17], -0.5
	v_add_f64 v[16:17], v[2:3], v[10:11]
	v_fma_f64 v[30:31], v[8:9], s[8:9], v[0:1]
	v_fma_f64 v[34:35], v[8:9], s[2:3], v[0:1]
	v_add_f64 v[2:3], v[32:33], v[18:19]
	v_fma_f64 v[24:25], v[4:5], 0.5, v[24:25]
	v_fma_f64 v[38:39], v[4:5], s[8:9], v[12:13]
	v_fma_f64 v[26:27], v[22:23], -0.5, v[26:27]
	v_fma_f64 v[22:23], v[22:23], s[8:9], v[14:15]
	v_add_f64 v[0:1], v[28:29], v[16:17]
	v_add_f64 v[12:13], v[28:29], -v[16:17]
	v_add_f64 v[14:15], v[32:33], -v[18:19]
	v_add_f64 v[4:5], v[36:37], v[24:25]
	v_add_f64 v[6:7], v[30:31], v[38:39]
	;; [unrolled: 1-line block ×4, first 2 shown]
	v_add_f64 v[16:17], v[36:37], -v[24:25]
	v_add_f64 v[18:19], v[30:31], -v[38:39]
	;; [unrolled: 1-line block ×4, first 2 shown]
	ds_write_b128 v116, v[0:3]
	ds_write_b128 v116, v[4:7] offset:528
	ds_write_b128 v116, v[8:11] offset:1056
	;; [unrolled: 1-line block ×5, first 2 shown]
	s_waitcnt lgkmcnt(0)
	s_barrier
	ds_read_b128 v[0:3], v113 offset:3168
	ds_read_b128 v[4:7], v113 offset:6336
	ds_read_b128 v[8:11], v113 offset:4752
	ds_read_b128 v[12:15], v113 offset:7920
	s_waitcnt lgkmcnt(3)
	v_mul_f64 v[16:17], v[62:63], v[2:3]
	s_waitcnt lgkmcnt(2)
	v_mul_f64 v[18:19], v[58:59], v[6:7]
	v_mul_f64 v[20:21], v[62:63], v[0:1]
	s_waitcnt lgkmcnt(1)
	v_mul_f64 v[22:23], v[70:71], v[10:11]
	s_waitcnt lgkmcnt(0)
	v_mul_f64 v[24:25], v[66:67], v[14:15]
	v_mul_f64 v[30:31], v[70:71], v[8:9]
	;; [unrolled: 1-line block ×3, first 2 shown]
	v_fma_f64 v[16:17], v[60:61], v[0:1], v[16:17]
	v_mul_f64 v[0:1], v[58:59], v[4:5]
	v_fma_f64 v[18:19], v[56:57], v[4:5], v[18:19]
	v_fma_f64 v[20:21], v[60:61], v[2:3], -v[20:21]
	v_fma_f64 v[22:23], v[68:69], v[8:9], v[22:23]
	v_fma_f64 v[24:25], v[64:65], v[12:13], v[24:25]
	v_fma_f64 v[10:11], v[68:69], v[10:11], -v[30:31]
	v_fma_f64 v[30:31], v[64:65], v[14:15], -v[32:33]
	;; [unrolled: 1-line block ×3, first 2 shown]
	v_add_f64 v[28:29], v[16:17], v[18:19]
	ds_read_b128 v[0:3], v113
	ds_read_b128 v[4:7], v113 offset:1584
	v_add_f64 v[32:33], v[22:23], v[24:25]
	v_add_f64 v[34:35], v[10:11], -v[30:31]
	s_waitcnt lgkmcnt(1)
	v_add_f64 v[8:9], v[0:1], v[16:17]
	v_add_f64 v[14:15], v[20:21], v[26:27]
	v_fma_f64 v[12:13], v[28:29], -0.5, v[0:1]
	v_add_f64 v[28:29], v[20:21], -v[26:27]
	v_add_f64 v[20:21], v[2:3], v[20:21]
	v_add_f64 v[16:17], v[16:17], -v[18:19]
	s_waitcnt lgkmcnt(0)
	v_add_f64 v[36:37], v[6:7], v[10:11]
	v_fma_f64 v[32:33], v[32:33], -0.5, v[4:5]
	v_add_f64 v[0:1], v[8:9], v[18:19]
	v_fma_f64 v[14:15], v[14:15], -0.5, v[2:3]
	v_add_f64 v[18:19], v[4:5], v[22:23]
	v_fma_f64 v[8:9], v[28:29], s[2:3], v[12:13]
	v_fma_f64 v[12:13], v[28:29], s[8:9], v[12:13]
	v_add_f64 v[28:29], v[10:11], v[30:31]
	v_add_f64 v[22:23], v[22:23], -v[24:25]
	v_add_f64 v[2:3], v[20:21], v[26:27]
	v_fma_f64 v[20:21], v[34:35], s[8:9], v[32:33]
	v_fma_f64 v[10:11], v[16:17], s[8:9], v[14:15]
	;; [unrolled: 1-line block ×3, first 2 shown]
	v_add_f64 v[4:5], v[18:19], v[24:25]
	v_fma_f64 v[16:17], v[34:35], s[2:3], v[32:33]
	v_fma_f64 v[28:29], v[28:29], -0.5, v[6:7]
	v_add_f64 v[6:7], v[36:37], v[30:31]
	v_fma_f64 v[18:19], v[22:23], s[8:9], v[28:29]
	v_fma_f64 v[22:23], v[22:23], s[2:3], v[28:29]
	ds_write_b128 v113, v[0:3]
	ds_write_b128 v113, v[8:11] offset:3168
	ds_write_b128 v113, v[12:15] offset:6336
	;; [unrolled: 1-line block ×5, first 2 shown]
	s_waitcnt lgkmcnt(0)
	s_barrier
	s_and_b64 exec, exec, s[0:1]
	s_cbranch_execz .LBB0_15
; %bb.14:
	global_load_dwordx4 v[0:3], v185, s[14:15]
	global_load_dwordx4 v[4:7], v185, s[14:15] offset:864
	global_load_dwordx4 v[8:11], v185, s[14:15] offset:1728
	;; [unrolled: 1-line block ×4, first 2 shown]
	v_mad_u64_u32 v[72:73], s[0:1], s6, v100, 0
	v_mov_b32_e32 v20, s15
	v_add_co_u32_e32 v56, vcc, s14, v185
	s_movk_i32 s0, 0x1000
	v_addc_co_u32_e32 v57, vcc, 0, v20, vcc
	v_add_co_u32_e32 v74, vcc, s0, v56
	v_addc_co_u32_e32 v75, vcc, 0, v57, vcc
	global_load_dwordx4 v[20:23], v[74:75], off offset:224
	ds_read_b128 v[24:27], v113
	ds_read_b128 v[28:31], v185 offset:864
	ds_read_b128 v[32:35], v185 offset:1728
	;; [unrolled: 1-line block ×6, first 2 shown]
	global_load_dwordx4 v[52:55], v[74:75], off offset:1088
	v_mad_u64_u32 v[76:77], s[2:3], s4, v186, 0
	s_mul_hi_u32 s6, s4, 0x360
	s_mul_i32 s2, s4, 0x360
	s_movk_i32 s4, 0x2000
	v_add_co_u32_e32 v78, vcc, s4, v56
	v_addc_co_u32_e32 v79, vcc, 0, v57, vcc
	global_load_dwordx4 v[56:59], v[74:75], off offset:1952
	global_load_dwordx4 v[60:63], v[74:75], off offset:2816
	s_mul_i32 s3, s5, 0x360
	v_mov_b32_e32 v64, v73
	v_mov_b32_e32 v65, v77
	s_add_i32 s3, s6, s3
	v_mad_u64_u32 v[80:81], s[6:7], s7, v100, v[64:65]
	v_mad_u64_u32 v[81:82], s[4:5], s5, v186, v[65:66]
	global_load_dwordx4 v[64:67], v[74:75], off offset:3680
	global_load_dwordx4 v[68:71], v[78:79], off offset:448
	v_mov_b32_e32 v73, v80
	v_lshlrev_b64 v[72:73], 4, v[72:73]
	v_mov_b32_e32 v83, s13
	v_mov_b32_e32 v77, v81
	v_add_co_u32_e32 v72, vcc, s12, v72
	v_addc_co_u32_e32 v73, vcc, v83, v73, vcc
	v_lshlrev_b64 v[74:75], 4, v[76:77]
	v_mov_b32_e32 v84, s3
	v_add_co_u32_e32 v72, vcc, v72, v74
	v_addc_co_u32_e32 v73, vcc, v73, v75, vcc
	v_add_co_u32_e32 v74, vcc, s2, v72
	v_addc_co_u32_e32 v75, vcc, v73, v84, vcc
	v_mov_b32_e32 v85, s3
	v_add_co_u32_e32 v76, vcc, s2, v74
	v_addc_co_u32_e32 v77, vcc, v75, v85, vcc
	s_mov_b32 s0, 0x2b18ff23
	s_mov_b32 s1, 0x3f5b951e
	v_mov_b32_e32 v88, s3
	s_waitcnt vmcnt(10) lgkmcnt(6)
	v_mul_f64 v[78:79], v[26:27], v[2:3]
	v_mul_f64 v[2:3], v[24:25], v[2:3]
	s_waitcnt vmcnt(9) lgkmcnt(5)
	v_mul_f64 v[80:81], v[30:31], v[6:7]
	v_mul_f64 v[6:7], v[28:29], v[6:7]
	;; [unrolled: 3-line block ×4, first 2 shown]
	v_fma_f64 v[24:25], v[24:25], v[0:1], v[78:79]
	v_fma_f64 v[2:3], v[0:1], v[26:27], -v[2:3]
	v_fma_f64 v[26:27], v[28:29], v[4:5], v[80:81]
	v_fma_f64 v[6:7], v[4:5], v[30:31], -v[6:7]
	;; [unrolled: 2-line block ×3, first 2 shown]
	s_waitcnt vmcnt(6) lgkmcnt(2)
	v_mul_f64 v[86:87], v[42:43], v[18:19]
	v_mul_f64 v[18:19], v[40:41], v[18:19]
	;; [unrolled: 1-line block ×8, first 2 shown]
	v_fma_f64 v[30:31], v[36:37], v[12:13], v[84:85]
	v_fma_f64 v[14:15], v[12:13], v[38:39], -v[14:15]
	v_fma_f64 v[26:27], v[40:41], v[16:17], v[86:87]
	v_fma_f64 v[16:17], v[16:17], v[42:43], -v[18:19]
	global_store_dwordx4 v[72:73], v[0:3], off
	global_store_dwordx4 v[74:75], v[4:7], off
	;; [unrolled: 1-line block ×3, first 2 shown]
	s_waitcnt vmcnt(8) lgkmcnt(1)
	v_mul_f64 v[4:5], v[44:45], v[22:23]
	v_mul_f64 v[24:25], v[46:47], v[22:23]
	;; [unrolled: 1-line block ×6, first 2 shown]
	v_add_co_u32_e32 v6, vcc, s2, v76
	v_fma_f64 v[4:5], v[20:21], v[46:47], -v[4:5]
	v_addc_co_u32_e32 v7, vcc, v77, v88, vcc
	global_store_dwordx4 v[6:7], v[12:15], off
	v_fma_f64 v[8:9], v[44:45], v[20:21], v[24:25]
	s_waitcnt vmcnt(8) lgkmcnt(0)
	v_mul_f64 v[10:11], v[50:51], v[54:55]
	v_mul_f64 v[12:13], v[48:49], v[54:55]
	v_mov_b32_e32 v15, s3
	v_add_co_u32_e32 v14, vcc, s2, v6
	v_addc_co_u32_e32 v15, vcc, v7, v15, vcc
	global_store_dwordx4 v[14:15], v[0:3], off
	v_fma_f64 v[16:17], v[48:49], v[52:53], v[10:11]
	v_mul_f64 v[2:3], v[4:5], s[0:1]
	ds_read_b128 v[4:7], v185 offset:6048
	v_mul_f64 v[0:1], v[8:9], s[0:1]
	ds_read_b128 v[8:11], v185 offset:6912
	v_fma_f64 v[12:13], v[52:53], v[50:51], -v[12:13]
	v_mov_b32_e32 v22, s3
	s_waitcnt vmcnt(8) lgkmcnt(1)
	v_mul_f64 v[18:19], v[6:7], v[58:59]
	v_mul_f64 v[20:21], v[4:5], v[58:59]
	v_add_co_u32_e32 v14, vcc, s2, v14
	v_addc_co_u32_e32 v15, vcc, v15, v22, vcc
	global_store_dwordx4 v[14:15], v[0:3], off
	v_add_co_u32_e32 v14, vcc, s2, v14
	v_mul_f64 v[0:1], v[16:17], s[0:1]
	v_mul_f64 v[2:3], v[12:13], s[0:1]
	v_fma_f64 v[4:5], v[4:5], v[56:57], v[18:19]
	v_fma_f64 v[6:7], v[56:57], v[6:7], -v[20:21]
	s_waitcnt vmcnt(8) lgkmcnt(0)
	v_mul_f64 v[12:13], v[10:11], v[62:63]
	v_mul_f64 v[16:17], v[8:9], v[62:63]
	v_addc_co_u32_e32 v15, vcc, v15, v22, vcc
	v_mov_b32_e32 v18, s3
	global_store_dwordx4 v[14:15], v[0:3], off
	v_add_co_u32_e32 v14, vcc, s2, v14
	v_mul_f64 v[0:1], v[4:5], s[0:1]
	v_mul_f64 v[2:3], v[6:7], s[0:1]
	v_fma_f64 v[12:13], v[8:9], v[60:61], v[12:13]
	v_fma_f64 v[16:17], v[60:61], v[10:11], -v[16:17]
	ds_read_b128 v[4:7], v185 offset:7776
	ds_read_b128 v[8:11], v185 offset:8640
	v_addc_co_u32_e32 v15, vcc, v15, v18, vcc
	s_waitcnt vmcnt(8) lgkmcnt(1)
	v_mul_f64 v[18:19], v[6:7], v[66:67]
	v_mul_f64 v[20:21], v[4:5], v[66:67]
	s_waitcnt vmcnt(7) lgkmcnt(0)
	v_mul_f64 v[22:23], v[10:11], v[70:71]
	v_mul_f64 v[24:25], v[8:9], v[70:71]
	global_store_dwordx4 v[14:15], v[0:3], off
	v_fma_f64 v[4:5], v[4:5], v[64:65], v[18:19]
	v_mul_f64 v[0:1], v[12:13], s[0:1]
	v_mul_f64 v[2:3], v[16:17], s[0:1]
	v_fma_f64 v[6:7], v[64:65], v[6:7], -v[20:21]
	v_fma_f64 v[8:9], v[8:9], v[68:69], v[22:23]
	v_fma_f64 v[10:11], v[68:69], v[10:11], -v[24:25]
	v_mov_b32_e32 v13, s3
	v_add_co_u32_e32 v12, vcc, s2, v14
	v_addc_co_u32_e32 v13, vcc, v15, v13, vcc
	global_store_dwordx4 v[12:13], v[0:3], off
	v_mov_b32_e32 v14, s3
	v_mul_f64 v[0:1], v[4:5], s[0:1]
	v_mul_f64 v[2:3], v[6:7], s[0:1]
	v_mul_f64 v[4:5], v[8:9], s[0:1]
	v_mul_f64 v[6:7], v[10:11], s[0:1]
	v_add_co_u32_e32 v8, vcc, s2, v12
	v_addc_co_u32_e32 v9, vcc, v13, v14, vcc
	global_store_dwordx4 v[8:9], v[0:3], off
	s_nop 0
	v_mov_b32_e32 v1, s3
	v_add_co_u32_e32 v0, vcc, s2, v8
	v_addc_co_u32_e32 v1, vcc, v9, v1, vcc
	global_store_dwordx4 v[0:1], v[4:7], off
.LBB0_15:
	s_endpgm
	.section	.rodata,"a",@progbits
	.p2align	6, 0x0
	.amdhsa_kernel bluestein_single_back_len594_dim1_dp_op_CI_CI
		.amdhsa_group_segment_fixed_size 9504
		.amdhsa_private_segment_fixed_size 0
		.amdhsa_kernarg_size 104
		.amdhsa_user_sgpr_count 6
		.amdhsa_user_sgpr_private_segment_buffer 1
		.amdhsa_user_sgpr_dispatch_ptr 0
		.amdhsa_user_sgpr_queue_ptr 0
		.amdhsa_user_sgpr_kernarg_segment_ptr 1
		.amdhsa_user_sgpr_dispatch_id 0
		.amdhsa_user_sgpr_flat_scratch_init 0
		.amdhsa_user_sgpr_private_segment_size 0
		.amdhsa_uses_dynamic_stack 0
		.amdhsa_system_sgpr_private_segment_wavefront_offset 0
		.amdhsa_system_sgpr_workgroup_id_x 1
		.amdhsa_system_sgpr_workgroup_id_y 0
		.amdhsa_system_sgpr_workgroup_id_z 0
		.amdhsa_system_sgpr_workgroup_info 0
		.amdhsa_system_vgpr_workitem_id 0
		.amdhsa_next_free_vgpr 254
		.amdhsa_next_free_sgpr 40
		.amdhsa_reserve_vcc 1
		.amdhsa_reserve_flat_scratch 0
		.amdhsa_float_round_mode_32 0
		.amdhsa_float_round_mode_16_64 0
		.amdhsa_float_denorm_mode_32 3
		.amdhsa_float_denorm_mode_16_64 3
		.amdhsa_dx10_clamp 1
		.amdhsa_ieee_mode 1
		.amdhsa_fp16_overflow 0
		.amdhsa_exception_fp_ieee_invalid_op 0
		.amdhsa_exception_fp_denorm_src 0
		.amdhsa_exception_fp_ieee_div_zero 0
		.amdhsa_exception_fp_ieee_overflow 0
		.amdhsa_exception_fp_ieee_underflow 0
		.amdhsa_exception_fp_ieee_inexact 0
		.amdhsa_exception_int_div_zero 0
	.end_amdhsa_kernel
	.text
.Lfunc_end0:
	.size	bluestein_single_back_len594_dim1_dp_op_CI_CI, .Lfunc_end0-bluestein_single_back_len594_dim1_dp_op_CI_CI
                                        ; -- End function
	.section	.AMDGPU.csdata,"",@progbits
; Kernel info:
; codeLenInByte = 12504
; NumSgprs: 44
; NumVgprs: 254
; ScratchSize: 0
; MemoryBound: 0
; FloatMode: 240
; IeeeMode: 1
; LDSByteSize: 9504 bytes/workgroup (compile time only)
; SGPRBlocks: 5
; VGPRBlocks: 63
; NumSGPRsForWavesPerEU: 44
; NumVGPRsForWavesPerEU: 254
; Occupancy: 1
; WaveLimiterHint : 1
; COMPUTE_PGM_RSRC2:SCRATCH_EN: 0
; COMPUTE_PGM_RSRC2:USER_SGPR: 6
; COMPUTE_PGM_RSRC2:TRAP_HANDLER: 0
; COMPUTE_PGM_RSRC2:TGID_X_EN: 1
; COMPUTE_PGM_RSRC2:TGID_Y_EN: 0
; COMPUTE_PGM_RSRC2:TGID_Z_EN: 0
; COMPUTE_PGM_RSRC2:TIDIG_COMP_CNT: 0
	.type	__hip_cuid_a71cc2435297335c,@object ; @__hip_cuid_a71cc2435297335c
	.section	.bss,"aw",@nobits
	.globl	__hip_cuid_a71cc2435297335c
__hip_cuid_a71cc2435297335c:
	.byte	0                               ; 0x0
	.size	__hip_cuid_a71cc2435297335c, 1

	.ident	"AMD clang version 19.0.0git (https://github.com/RadeonOpenCompute/llvm-project roc-6.4.0 25133 c7fe45cf4b819c5991fe208aaa96edf142730f1d)"
	.section	".note.GNU-stack","",@progbits
	.addrsig
	.addrsig_sym __hip_cuid_a71cc2435297335c
	.amdgpu_metadata
---
amdhsa.kernels:
  - .args:
      - .actual_access:  read_only
        .address_space:  global
        .offset:         0
        .size:           8
        .value_kind:     global_buffer
      - .actual_access:  read_only
        .address_space:  global
        .offset:         8
        .size:           8
        .value_kind:     global_buffer
      - .actual_access:  read_only
        .address_space:  global
        .offset:         16
        .size:           8
        .value_kind:     global_buffer
      - .actual_access:  read_only
        .address_space:  global
        .offset:         24
        .size:           8
        .value_kind:     global_buffer
      - .actual_access:  read_only
        .address_space:  global
        .offset:         32
        .size:           8
        .value_kind:     global_buffer
      - .offset:         40
        .size:           8
        .value_kind:     by_value
      - .address_space:  global
        .offset:         48
        .size:           8
        .value_kind:     global_buffer
      - .address_space:  global
        .offset:         56
        .size:           8
        .value_kind:     global_buffer
      - .address_space:  global
        .offset:         64
        .size:           8
        .value_kind:     global_buffer
      - .address_space:  global
        .offset:         72
        .size:           8
        .value_kind:     global_buffer
      - .offset:         80
        .size:           4
        .value_kind:     by_value
      - .address_space:  global
        .offset:         88
        .size:           8
        .value_kind:     global_buffer
      - .address_space:  global
        .offset:         96
        .size:           8
        .value_kind:     global_buffer
    .group_segment_fixed_size: 9504
    .kernarg_segment_align: 8
    .kernarg_segment_size: 104
    .language:       OpenCL C
    .language_version:
      - 2
      - 0
    .max_flat_workgroup_size: 99
    .name:           bluestein_single_back_len594_dim1_dp_op_CI_CI
    .private_segment_fixed_size: 0
    .sgpr_count:     44
    .sgpr_spill_count: 0
    .symbol:         bluestein_single_back_len594_dim1_dp_op_CI_CI.kd
    .uniform_work_group_size: 1
    .uses_dynamic_stack: false
    .vgpr_count:     254
    .vgpr_spill_count: 0
    .wavefront_size: 64
amdhsa.target:   amdgcn-amd-amdhsa--gfx906
amdhsa.version:
  - 1
  - 2
...

	.end_amdgpu_metadata
